;; amdgpu-corpus repo=ROCm/rocFFT kind=compiled arch=gfx950 opt=O3
	.text
	.amdgcn_target "amdgcn-amd-amdhsa--gfx950"
	.amdhsa_code_object_version 6
	.protected	fft_rtc_fwd_len2000_factors_5_5_5_16_wgs_125_tpt_125_halfLds_dp_ip_CI_sbrr_dirReg ; -- Begin function fft_rtc_fwd_len2000_factors_5_5_5_16_wgs_125_tpt_125_halfLds_dp_ip_CI_sbrr_dirReg
	.globl	fft_rtc_fwd_len2000_factors_5_5_5_16_wgs_125_tpt_125_halfLds_dp_ip_CI_sbrr_dirReg
	.p2align	8
	.type	fft_rtc_fwd_len2000_factors_5_5_5_16_wgs_125_tpt_125_halfLds_dp_ip_CI_sbrr_dirReg,@function
fft_rtc_fwd_len2000_factors_5_5_5_16_wgs_125_tpt_125_halfLds_dp_ip_CI_sbrr_dirReg: ; @fft_rtc_fwd_len2000_factors_5_5_5_16_wgs_125_tpt_125_halfLds_dp_ip_CI_sbrr_dirReg
; %bb.0:
	s_load_dwordx2 s[12:13], s[0:1], 0x18
	s_load_dwordx4 s[4:7], s[0:1], 0x0
	s_load_dwordx2 s[10:11], s[0:1], 0x50
	v_mul_u32_u24_e32 v1, 0x20d, v0
	v_add_u32_sdwa v6, s2, v1 dst_sel:DWORD dst_unused:UNUSED_PAD src0_sel:DWORD src1_sel:WORD_1
	s_waitcnt lgkmcnt(0)
	s_load_dwordx2 s[8:9], s[12:13], 0x0
	v_mov_b32_e32 v4, 0
	v_cmp_lt_u64_e64 s[2:3], s[6:7], 2
	v_mov_b32_e32 v7, v4
	s_and_b64 vcc, exec, s[2:3]
	v_mov_b64_e32 v[2:3], 0
	s_cbranch_vccnz .LBB0_8
; %bb.1:
	s_load_dwordx2 s[2:3], s[0:1], 0x10
	s_add_u32 s14, s12, 8
	s_addc_u32 s15, s13, 0
	s_mov_b64 s[16:17], 1
	v_mov_b64_e32 v[2:3], 0
	s_waitcnt lgkmcnt(0)
	s_add_u32 s18, s2, 8
	s_addc_u32 s19, s3, 0
.LBB0_2:                                ; =>This Inner Loop Header: Depth=1
	s_load_dwordx2 s[20:21], s[18:19], 0x0
                                        ; implicit-def: $vgpr8_vgpr9
	s_waitcnt lgkmcnt(0)
	v_or_b32_e32 v5, s21, v7
	v_cmp_ne_u64_e32 vcc, 0, v[4:5]
	s_and_saveexec_b64 s[2:3], vcc
	s_xor_b64 s[22:23], exec, s[2:3]
	s_cbranch_execz .LBB0_4
; %bb.3:                                ;   in Loop: Header=BB0_2 Depth=1
	v_cvt_f32_u32_e32 v1, s20
	v_cvt_f32_u32_e32 v5, s21
	s_sub_u32 s2, 0, s20
	s_subb_u32 s3, 0, s21
	v_fmac_f32_e32 v1, 0x4f800000, v5
	v_rcp_f32_e32 v1, v1
	s_nop 0
	v_mul_f32_e32 v1, 0x5f7ffffc, v1
	v_mul_f32_e32 v5, 0x2f800000, v1
	v_trunc_f32_e32 v5, v5
	v_fmac_f32_e32 v1, 0xcf800000, v5
	v_cvt_u32_f32_e32 v5, v5
	v_cvt_u32_f32_e32 v1, v1
	v_mul_lo_u32 v8, s2, v5
	v_mul_hi_u32 v10, s2, v1
	v_mul_lo_u32 v9, s3, v1
	v_add_u32_e32 v10, v10, v8
	v_mul_lo_u32 v12, s2, v1
	v_add_u32_e32 v13, v10, v9
	v_mul_hi_u32 v8, v1, v12
	v_mul_hi_u32 v11, v1, v13
	v_mul_lo_u32 v10, v1, v13
	v_mov_b32_e32 v9, v4
	v_lshl_add_u64 v[8:9], v[8:9], 0, v[10:11]
	v_mul_hi_u32 v11, v5, v12
	v_mul_lo_u32 v12, v5, v12
	v_add_co_u32_e32 v8, vcc, v8, v12
	v_mul_hi_u32 v10, v5, v13
	s_nop 0
	v_addc_co_u32_e32 v8, vcc, v9, v11, vcc
	v_mov_b32_e32 v9, v4
	s_nop 0
	v_addc_co_u32_e32 v11, vcc, 0, v10, vcc
	v_mul_lo_u32 v10, v5, v13
	v_lshl_add_u64 v[8:9], v[8:9], 0, v[10:11]
	v_add_co_u32_e32 v1, vcc, v1, v8
	v_mul_lo_u32 v10, s2, v1
	s_nop 0
	v_addc_co_u32_e32 v5, vcc, v5, v9, vcc
	v_mul_lo_u32 v8, s2, v5
	v_mul_hi_u32 v9, s2, v1
	v_add_u32_e32 v8, v9, v8
	v_mul_lo_u32 v9, s3, v1
	v_add_u32_e32 v12, v8, v9
	v_mul_hi_u32 v14, v5, v10
	v_mul_lo_u32 v15, v5, v10
	v_mul_hi_u32 v9, v1, v12
	v_mul_lo_u32 v8, v1, v12
	v_mul_hi_u32 v10, v1, v10
	v_mov_b32_e32 v11, v4
	v_lshl_add_u64 v[8:9], v[10:11], 0, v[8:9]
	v_add_co_u32_e32 v8, vcc, v8, v15
	v_mul_hi_u32 v13, v5, v12
	s_nop 0
	v_addc_co_u32_e32 v8, vcc, v9, v14, vcc
	v_mul_lo_u32 v10, v5, v12
	s_nop 0
	v_addc_co_u32_e32 v11, vcc, 0, v13, vcc
	v_mov_b32_e32 v9, v4
	v_lshl_add_u64 v[8:9], v[8:9], 0, v[10:11]
	v_add_co_u32_e32 v1, vcc, v1, v8
	v_mul_hi_u32 v10, v6, v1
	s_nop 0
	v_addc_co_u32_e32 v5, vcc, v5, v9, vcc
	v_mad_u64_u32 v[8:9], s[2:3], v6, v5, 0
	v_mov_b32_e32 v11, v4
	v_lshl_add_u64 v[8:9], v[10:11], 0, v[8:9]
	v_mad_u64_u32 v[12:13], s[2:3], v7, v1, 0
	v_add_co_u32_e32 v1, vcc, v8, v12
	v_mad_u64_u32 v[10:11], s[2:3], v7, v5, 0
	s_nop 0
	v_addc_co_u32_e32 v8, vcc, v9, v13, vcc
	v_mov_b32_e32 v9, v4
	s_nop 0
	v_addc_co_u32_e32 v11, vcc, 0, v11, vcc
	v_lshl_add_u64 v[8:9], v[8:9], 0, v[10:11]
	v_mul_lo_u32 v1, s21, v8
	v_mul_lo_u32 v5, s20, v9
	v_mad_u64_u32 v[10:11], s[2:3], s20, v8, 0
	v_add3_u32 v1, v11, v5, v1
	v_sub_u32_e32 v5, v7, v1
	v_mov_b32_e32 v11, s21
	v_sub_co_u32_e32 v14, vcc, v6, v10
	v_lshl_add_u64 v[12:13], v[8:9], 0, 1
	s_nop 0
	v_subb_co_u32_e64 v5, s[2:3], v5, v11, vcc
	v_subrev_co_u32_e64 v10, s[2:3], s20, v14
	v_subb_co_u32_e32 v1, vcc, v7, v1, vcc
	s_nop 0
	v_subbrev_co_u32_e64 v5, s[2:3], 0, v5, s[2:3]
	v_cmp_le_u32_e64 s[2:3], s21, v5
	v_cmp_le_u32_e32 vcc, s21, v1
	s_nop 0
	v_cndmask_b32_e64 v11, 0, -1, s[2:3]
	v_cmp_le_u32_e64 s[2:3], s20, v10
	s_nop 1
	v_cndmask_b32_e64 v10, 0, -1, s[2:3]
	v_cmp_eq_u32_e64 s[2:3], s21, v5
	s_nop 1
	v_cndmask_b32_e64 v5, v11, v10, s[2:3]
	v_lshl_add_u64 v[10:11], v[8:9], 0, 2
	v_cmp_ne_u32_e64 s[2:3], 0, v5
	s_nop 1
	v_cndmask_b32_e64 v5, v13, v11, s[2:3]
	v_cndmask_b32_e64 v11, 0, -1, vcc
	v_cmp_le_u32_e32 vcc, s20, v14
	s_nop 1
	v_cndmask_b32_e64 v13, 0, -1, vcc
	v_cmp_eq_u32_e32 vcc, s21, v1
	s_nop 1
	v_cndmask_b32_e32 v1, v11, v13, vcc
	v_cmp_ne_u32_e32 vcc, 0, v1
	v_cndmask_b32_e64 v1, v12, v10, s[2:3]
	s_nop 0
	v_cndmask_b32_e32 v9, v9, v5, vcc
	v_cndmask_b32_e32 v8, v8, v1, vcc
.LBB0_4:                                ;   in Loop: Header=BB0_2 Depth=1
	s_andn2_saveexec_b64 s[2:3], s[22:23]
	s_cbranch_execz .LBB0_6
; %bb.5:                                ;   in Loop: Header=BB0_2 Depth=1
	v_cvt_f32_u32_e32 v1, s20
	s_sub_i32 s22, 0, s20
	v_rcp_iflag_f32_e32 v1, v1
	s_nop 0
	v_mul_f32_e32 v1, 0x4f7ffffe, v1
	v_cvt_u32_f32_e32 v1, v1
	v_mul_lo_u32 v5, s22, v1
	v_mul_hi_u32 v5, v1, v5
	v_add_u32_e32 v1, v1, v5
	v_mul_hi_u32 v1, v6, v1
	v_mul_lo_u32 v5, v1, s20
	v_sub_u32_e32 v5, v6, v5
	v_add_u32_e32 v8, 1, v1
	v_subrev_u32_e32 v9, s20, v5
	v_cmp_le_u32_e32 vcc, s20, v5
	s_nop 1
	v_cndmask_b32_e32 v5, v5, v9, vcc
	v_cndmask_b32_e32 v1, v1, v8, vcc
	v_add_u32_e32 v8, 1, v1
	v_cmp_le_u32_e32 vcc, s20, v5
	v_mov_b32_e32 v9, v4
	s_nop 0
	v_cndmask_b32_e32 v8, v1, v8, vcc
.LBB0_6:                                ;   in Loop: Header=BB0_2 Depth=1
	s_or_b64 exec, exec, s[2:3]
	v_mad_u64_u32 v[10:11], s[2:3], v8, s20, 0
	s_load_dwordx2 s[2:3], s[14:15], 0x0
	v_mul_lo_u32 v1, v9, s20
	v_mul_lo_u32 v5, v8, s21
	v_add3_u32 v1, v11, v5, v1
	v_sub_co_u32_e32 v5, vcc, v6, v10
	s_add_u32 s16, s16, 1
	s_nop 0
	v_subb_co_u32_e32 v1, vcc, v7, v1, vcc
	s_addc_u32 s17, s17, 0
	s_waitcnt lgkmcnt(0)
	v_mul_lo_u32 v1, s2, v1
	v_mul_lo_u32 v6, s3, v5
	v_mad_u64_u32 v[2:3], s[2:3], s2, v5, v[2:3]
	s_add_u32 s14, s14, 8
	v_add3_u32 v3, v6, v3, v1
	s_addc_u32 s15, s15, 0
	v_mov_b64_e32 v[6:7], s[6:7]
	s_add_u32 s18, s18, 8
	v_cmp_ge_u64_e32 vcc, s[16:17], v[6:7]
	s_addc_u32 s19, s19, 0
	s_cbranch_vccnz .LBB0_9
; %bb.7:                                ;   in Loop: Header=BB0_2 Depth=1
	v_mov_b64_e32 v[6:7], v[8:9]
	s_branch .LBB0_2
.LBB0_8:
	v_mov_b64_e32 v[8:9], v[6:7]
.LBB0_9:
	s_lshl_b64 s[2:3], s[6:7], 3
	s_add_u32 s2, s12, s2
	s_addc_u32 s3, s13, s3
	s_load_dwordx2 s[6:7], s[2:3], 0x0
	s_load_dwordx2 s[12:13], s[0:1], 0x20
	s_mov_b32 s2, 0x20c49bb
                                        ; implicit-def: $vgpr126
                                        ; implicit-def: $vgpr125
	s_waitcnt lgkmcnt(0)
	v_mul_lo_u32 v1, s6, v9
	v_mul_lo_u32 v4, s7, v8
	v_mad_u64_u32 v[2:3], s[0:1], s6, v8, v[2:3]
	v_add3_u32 v3, v4, v3, v1
	v_mul_hi_u32 v1, v0, s2
	v_mul_u32_u24_e32 v1, 0x7d, v1
	v_cmp_gt_u64_e32 vcc, s[12:13], v[8:9]
	v_cmp_le_u64_e64 s[0:1], s[12:13], v[8:9]
	v_sub_u32_e32 v123, v0, v1
                                        ; implicit-def: $sgpr6
	s_and_saveexec_b64 s[2:3], s[0:1]
	s_xor_b64 s[0:1], exec, s[2:3]
; %bb.10:
	v_add_u32_e32 v126, 0x7d, v123
	v_add_u32_e32 v125, 0xfa, v123
	s_mov_b32 s6, 0
; %bb.11:
	s_or_saveexec_b64 s[2:3], s[0:1]
	v_mov_b32_e32 v122, s6
	v_lshl_add_u64 v[104:105], v[2:3], 4, s[10:11]
                                        ; implicit-def: $vgpr18_vgpr19
                                        ; implicit-def: $vgpr22_vgpr23
                                        ; implicit-def: $vgpr26_vgpr27
                                        ; implicit-def: $vgpr38_vgpr39
                                        ; implicit-def: $vgpr10_vgpr11
                                        ; implicit-def: $vgpr80_vgpr81
                                        ; implicit-def: $vgpr30_vgpr31
                                        ; implicit-def: $vgpr42_vgpr43
                                        ; implicit-def: $vgpr14_vgpr15
                                        ; implicit-def: $vgpr8_vgpr9
                                        ; implicit-def: $vgpr50_vgpr51
                                        ; implicit-def: $vgpr54_vgpr55
                                        ; implicit-def: $vgpr62_vgpr63
                                        ; implicit-def: $vgpr66_vgpr67
                                        ; implicit-def: $vgpr78_vgpr79
                                        ; implicit-def: $vgpr4_vgpr5
                                        ; implicit-def: $vgpr74_vgpr75
                                        ; implicit-def: $vgpr70_vgpr71
                                        ; implicit-def: $vgpr58_vgpr59
                                        ; implicit-def: $vgpr2_vgpr3
                                        ; implicit-def: $vgpr46_vgpr47
                                        ; implicit-def: $vgpr34_vgpr35
                                        ; implicit-def: $vgpr6_vgpr7
	s_xor_b64 exec, exec, s[2:3]
	s_cbranch_execz .LBB0_15
; %bb.12:
	v_mad_u64_u32 v[0:1], s[0:1], s8, v123, 0
	v_mov_b32_e32 v2, v1
	v_mad_u64_u32 v[2:3], s[0:1], s9, v123, v[2:3]
	v_add_u32_e32 v5, 0x190, v123
	v_mov_b32_e32 v1, v2
	v_mad_u64_u32 v[2:3], s[0:1], s8, v5, 0
	v_mov_b32_e32 v4, v3
	v_mad_u64_u32 v[4:5], s[0:1], s9, v5, v[4:5]
	v_mov_b32_e32 v3, v4
	v_lshl_add_u64 v[0:1], v[0:1], 4, v[104:105]
	v_lshl_add_u64 v[2:3], v[2:3], 4, v[104:105]
	global_load_dwordx4 v[4:7], v[0:1], off
	global_load_dwordx4 v[16:19], v[2:3], off
	v_add_u32_e32 v3, 0x320, v123
	v_mad_u64_u32 v[0:1], s[0:1], s8, v3, 0
	v_mov_b32_e32 v2, v1
	v_mad_u64_u32 v[2:3], s[0:1], s9, v3, v[2:3]
	v_add_u32_e32 v9, 0x4b0, v123
	v_mov_b32_e32 v1, v2
	v_mad_u64_u32 v[2:3], s[0:1], s8, v9, 0
	v_mov_b32_e32 v8, v3
	v_mad_u64_u32 v[8:9], s[0:1], s9, v9, v[8:9]
	v_mov_b32_e32 v3, v8
	v_lshl_add_u64 v[0:1], v[0:1], 4, v[104:105]
	v_lshl_add_u64 v[2:3], v[2:3], 4, v[104:105]
	global_load_dwordx4 v[20:23], v[0:1], off
	global_load_dwordx4 v[24:27], v[2:3], off
	v_add_u32_e32 v3, 0x640, v123
	v_mad_u64_u32 v[0:1], s[0:1], s8, v3, 0
	v_mov_b32_e32 v2, v1
	v_mad_u64_u32 v[2:3], s[0:1], s9, v3, v[2:3]
	v_add_u32_e32 v126, 0x7d, v123
	v_mov_b32_e32 v1, v2
	v_mad_u64_u32 v[2:3], s[0:1], s8, v126, 0
	v_mov_b32_e32 v8, v3
	v_mad_u64_u32 v[8:9], s[0:1], s9, v126, v[8:9]
	v_mov_b32_e32 v3, v8
	v_lshl_add_u64 v[0:1], v[0:1], 4, v[104:105]
	v_lshl_add_u64 v[2:3], v[2:3], 4, v[104:105]
	global_load_dwordx4 v[36:39], v[0:1], off
	global_load_dwordx4 v[8:11], v[2:3], off
	v_add_u32_e32 v3, 0x20d, v123
	v_mad_u64_u32 v[0:1], s[0:1], s8, v3, 0
	v_mov_b32_e32 v2, v1
	v_mad_u64_u32 v[2:3], s[0:1], s9, v3, v[2:3]
	v_add_u32_e32 v13, 0x39d, v123
	v_mov_b32_e32 v1, v2
	v_mad_u64_u32 v[2:3], s[0:1], s8, v13, 0
	v_mov_b32_e32 v12, v3
	v_mad_u64_u32 v[12:13], s[0:1], s9, v13, v[12:13]
	v_mov_b32_e32 v3, v12
	v_lshl_add_u64 v[0:1], v[0:1], 4, v[104:105]
	v_lshl_add_u64 v[2:3], v[2:3], 4, v[104:105]
	global_load_dwordx4 v[32:35], v[0:1], off
	global_load_dwordx4 v[28:31], v[2:3], off
	v_add_u32_e32 v3, 0x52d, v123
	v_mad_u64_u32 v[0:1], s[0:1], s8, v3, 0
	v_mov_b32_e32 v2, v1
	v_mad_u64_u32 v[2:3], s[0:1], s9, v3, v[2:3]
	v_add_u32_e32 v13, 0x6bd, v123
	v_mov_b32_e32 v1, v2
	v_mad_u64_u32 v[2:3], s[0:1], s8, v13, 0
	v_mov_b32_e32 v12, v3
	v_mad_u64_u32 v[12:13], s[0:1], s9, v13, v[12:13]
	v_lshl_add_u64 v[0:1], v[0:1], 4, v[104:105]
	v_mov_b32_e32 v3, v12
	v_add_u32_e32 v125, 0xfa, v123
	v_lshl_add_u64 v[2:3], v[2:3], 4, v[104:105]
	global_load_dwordx4 v[40:43], v[0:1], off
	global_load_dwordx4 v[44:47], v[2:3], off
	v_mad_u64_u32 v[0:1], s[0:1], s8, v125, 0
	v_mov_b32_e32 v2, v1
	v_mad_u64_u32 v[2:3], s[0:1], s9, v125, v[2:3]
	v_add_u32_e32 v13, 0x28a, v123
	v_mov_b32_e32 v1, v2
	v_mad_u64_u32 v[2:3], s[0:1], s8, v13, 0
	v_mov_b32_e32 v12, v3
	v_mad_u64_u32 v[12:13], s[0:1], s9, v13, v[12:13]
	v_add_u32_e32 v13, 0x41a, v123
	v_mad_u64_u32 v[52:53], s[0:1], s8, v13, 0
	v_mov_b32_e32 v3, v12
	v_mov_b32_e32 v12, v53
	v_mad_u64_u32 v[12:13], s[0:1], s9, v13, v[12:13]
	v_add_u32_e32 v13, 0x5aa, v123
	v_mad_u64_u32 v[54:55], s[0:1], s8, v13, 0
	v_mov_b32_e32 v53, v12
	;; [unrolled: 5-line block ×3, first 2 shown]
	v_mov_b32_e32 v12, v57
	v_lshl_add_u64 v[0:1], v[0:1], 4, v[104:105]
	v_mad_u64_u32 v[12:13], s[0:1], s9, v13, v[12:13]
	v_lshl_add_u64 v[2:3], v[2:3], 4, v[104:105]
	v_mov_b32_e32 v57, v12
	global_load_dwordx4 v[12:15], v[0:1], off
	global_load_dwordx4 v[48:51], v[2:3], off
	v_lshl_add_u64 v[0:1], v[52:53], 4, v[104:105]
	v_lshl_add_u64 v[2:3], v[54:55], 4, v[104:105]
	;; [unrolled: 1-line block ×3, first 2 shown]
	global_load_dwordx4 v[52:55], v[0:1], off
	global_load_dwordx4 v[60:63], v[2:3], off
	;; [unrolled: 1-line block ×3, first 2 shown]
	v_cmp_gt_u32_e64 s[0:1], 25, v123
                                        ; implicit-def: $vgpr0_vgpr1
                                        ; implicit-def: $vgpr56_vgpr57
                                        ; implicit-def: $vgpr68_vgpr69
                                        ; implicit-def: $vgpr72_vgpr73
                                        ; implicit-def: $vgpr76_vgpr77
	s_and_saveexec_b64 s[6:7], s[0:1]
	s_cbranch_execz .LBB0_14
; %bb.13:
	v_add_u32_e32 v3, 0x177, v123
	v_mad_u64_u32 v[0:1], s[0:1], s8, v3, 0
	v_mov_b32_e32 v2, v1
	v_mad_u64_u32 v[2:3], s[0:1], s9, v3, v[2:3]
	v_mov_b32_e32 v1, v2
	v_add_u32_e32 v3, 0x307, v123
	v_lshl_add_u64 v[68:69], v[0:1], 4, v[104:105]
	v_mad_u64_u32 v[0:1], s[0:1], s8, v3, 0
	v_mov_b32_e32 v2, v1
	v_mad_u64_u32 v[2:3], s[0:1], s9, v3, v[2:3]
	v_mov_b32_e32 v1, v2
	v_lshl_add_u64 v[70:71], v[0:1], 4, v[104:105]
	global_load_dwordx4 v[0:3], v[68:69], off
	global_load_dwordx4 v[56:59], v[70:71], off
	v_add_u32_e32 v71, 0x497, v123
	v_mad_u64_u32 v[68:69], s[0:1], s8, v71, 0
	v_mov_b32_e32 v70, v69
	v_mad_u64_u32 v[70:71], s[0:1], s9, v71, v[70:71]
	v_mov_b32_e32 v69, v70
	v_add_u32_e32 v71, 0x627, v123
	v_lshl_add_u64 v[76:77], v[68:69], 4, v[104:105]
	v_mad_u64_u32 v[68:69], s[0:1], s8, v71, 0
	v_mov_b32_e32 v70, v69
	v_mad_u64_u32 v[70:71], s[0:1], s9, v71, v[70:71]
	v_mov_b32_e32 v69, v70
	v_lshl_add_u64 v[78:79], v[68:69], 4, v[104:105]
	global_load_dwordx4 v[68:71], v[76:77], off
	global_load_dwordx4 v[72:75], v[78:79], off
	v_add_u32_e32 v79, 0x7b7, v123
	v_mad_u64_u32 v[76:77], s[0:1], s8, v79, 0
	v_mov_b32_e32 v78, v77
	v_mad_u64_u32 v[78:79], s[0:1], s9, v79, v[78:79]
	v_mov_b32_e32 v77, v78
	v_lshl_add_u64 v[76:77], v[76:77], 4, v[104:105]
	global_load_dwordx4 v[76:79], v[76:77], off
.LBB0_14:
	s_or_b64 exec, exec, s[6:7]
	s_waitcnt vmcnt(9)
	v_mov_b64_e32 v[80:81], v[8:9]
	s_waitcnt vmcnt(4)
	v_mov_b64_e32 v[8:9], v[12:13]
	v_mov_b32_e32 v122, v123
.LBB0_15:
	s_or_b64 exec, exec, s[2:3]
	v_add_f64 v[12:13], v[16:17], v[4:5]
	v_add_f64 v[12:13], v[20:21], v[12:13]
	;; [unrolled: 1-line block ×5, first 2 shown]
	s_mov_b32 s0, 0x134454ff
	v_fma_f64 v[84:85], -0.5, v[12:13], v[4:5]
	v_add_f64 v[12:13], v[18:19], -v[38:39]
	s_mov_b32 s1, 0x3fee6f0e
	s_mov_b32 s2, 0x4755a5e
	;; [unrolled: 1-line block ×4, first 2 shown]
	v_fma_f64 v[86:87], s[0:1], v[12:13], v[84:85]
	v_add_f64 v[88:89], v[22:23], -v[26:27]
	s_mov_b32 s3, 0x3fe2cf23
	v_add_f64 v[90:91], v[16:17], -v[20:21]
	v_add_f64 v[92:93], v[36:37], -v[24:25]
	s_mov_b32 s6, 0x372fe950
	v_fmac_f64_e32 v[84:85], s[10:11], v[12:13]
	s_mov_b32 s13, 0xbfe2cf23
	s_mov_b32 s12, s2
	v_fmac_f64_e32 v[86:87], s[2:3], v[88:89]
	v_add_f64 v[90:91], v[90:91], v[92:93]
	s_mov_b32 s7, 0x3fd3c6ef
	v_fmac_f64_e32 v[84:85], s[12:13], v[88:89]
	v_fmac_f64_e32 v[86:87], s[6:7], v[90:91]
	;; [unrolled: 1-line block ×3, first 2 shown]
	v_add_f64 v[90:91], v[16:17], v[36:37]
	v_fmac_f64_e32 v[4:5], -0.5, v[90:91]
	v_add_f64 v[90:91], v[20:21], -v[16:17]
	v_add_f64 v[92:93], v[24:25], -v[36:37]
	v_add_f64 v[90:91], v[90:91], v[92:93]
	v_fma_f64 v[92:93], s[10:11], v[88:89], v[4:5]
	v_fmac_f64_e32 v[4:5], s[0:1], v[88:89]
	v_fmac_f64_e32 v[92:93], s[2:3], v[12:13]
	v_fmac_f64_e32 v[4:5], s[12:13], v[12:13]
	v_add_f64 v[12:13], v[28:29], v[40:41]
	v_fma_f64 v[88:89], -0.5, v[12:13], v[80:81]
	v_mad_u32_u24 v12, v123, 40, 0
	v_fmac_f64_e32 v[92:93], s[6:7], v[90:91]
	v_fmac_f64_e32 v[4:5], s[6:7], v[90:91]
	v_add_f64 v[90:91], v[34:35], -v[46:47]
	ds_write2_b64 v12, v[82:83], v[86:87] offset1:1
	v_add_f64 v[82:83], v[32:33], -v[28:29]
	v_add_f64 v[86:87], v[44:45], -v[40:41]
	v_fma_f64 v[94:95], s[0:1], v[90:91], v[88:89]
	v_add_f64 v[82:83], v[86:87], v[82:83]
	v_add_f64 v[86:87], v[30:31], -v[42:43]
	v_fmac_f64_e32 v[88:89], s[10:11], v[90:91]
	v_fmac_f64_e32 v[94:95], s[2:3], v[86:87]
	;; [unrolled: 1-line block ×5, first 2 shown]
	v_add_f64 v[82:83], v[80:81], v[32:33]
	v_add_f64 v[96:97], v[44:45], v[32:33]
	;; [unrolled: 1-line block ×3, first 2 shown]
	v_fmac_f64_e32 v[80:81], -0.5, v[96:97]
	v_add_f64 v[96:97], v[28:29], -v[32:33]
	v_add_f64 v[98:99], v[40:41], -v[44:45]
	v_add_f64 v[82:83], v[40:41], v[82:83]
	v_add_f64 v[96:97], v[98:99], v[96:97]
	v_fma_f64 v[98:99], s[10:11], v[86:87], v[80:81]
	v_fmac_f64_e32 v[80:81], s[0:1], v[86:87]
	v_add_f64 v[82:83], v[44:45], v[82:83]
	s_waitcnt vmcnt(1)
	v_add_f64 v[86:87], v[52:53], v[60:61]
	v_mad_i32_i24 v120, v126, 40, 0
	v_fma_f64 v[86:87], -0.5, v[86:87], v[8:9]
	ds_write2_b64 v12, v[92:93], v[4:5] offset0:2 offset1:3
	s_waitcnt vmcnt(0)
	v_add_f64 v[4:5], v[50:51], -v[66:67]
	ds_write_b64 v12, v[84:85] offset:32
	ds_write2_b64 v120, v[82:83], v[94:95] offset1:1
	v_add_f64 v[82:83], v[48:49], -v[52:53]
	v_add_f64 v[84:85], v[64:65], -v[60:61]
	v_fmac_f64_e32 v[98:99], s[2:3], v[90:91]
	v_fmac_f64_e32 v[80:81], s[12:13], v[90:91]
	v_fma_f64 v[90:91], s[0:1], v[4:5], v[86:87]
	v_add_f64 v[82:83], v[82:83], v[84:85]
	v_add_f64 v[84:85], v[54:55], -v[62:63]
	v_fmac_f64_e32 v[86:87], s[10:11], v[4:5]
	v_fmac_f64_e32 v[90:91], s[2:3], v[84:85]
	;; [unrolled: 1-line block ×3, first 2 shown]
	v_add_f64 v[92:93], v[48:49], v[64:65]
	v_fmac_f64_e32 v[90:91], s[6:7], v[82:83]
	v_fmac_f64_e32 v[86:87], s[6:7], v[82:83]
	v_add_f64 v[82:83], v[8:9], v[48:49]
	v_fmac_f64_e32 v[8:9], -0.5, v[92:93]
	v_add_f64 v[92:93], v[52:53], -v[48:49]
	v_add_f64 v[94:95], v[60:61], -v[64:65]
	v_add_f64 v[92:93], v[92:93], v[94:95]
	v_fma_f64 v[94:95], s[10:11], v[84:85], v[8:9]
	v_fmac_f64_e32 v[8:9], s[0:1], v[84:85]
	v_fmac_f64_e32 v[98:99], s[6:7], v[96:97]
	;; [unrolled: 1-line block ×5, first 2 shown]
	v_add_f64 v[4:5], v[72:73], v[68:69]
	v_fma_f64 v[114:115], -0.5, v[4:5], v[0:1]
	ds_write2_b64 v120, v[98:99], v[80:81] offset0:2 offset1:3
	v_add_f64 v[4:5], v[56:57], -v[68:69]
	v_add_f64 v[80:81], v[76:77], -v[72:73]
	v_add_f64 v[4:5], v[80:81], v[4:5]
	v_add_f64 v[80:81], v[58:59], -v[78:79]
	v_fma_f64 v[116:117], s[0:1], v[80:81], v[114:115]
	v_add_f64 v[84:85], v[70:71], -v[74:75]
	v_fmac_f64_e32 v[114:115], s[10:11], v[80:81]
	v_fmac_f64_e32 v[94:95], s[6:7], v[92:93]
	;; [unrolled: 1-line block ×5, first 2 shown]
	v_add_f64 v[92:93], v[76:77], v[56:57]
	v_fmac_f64_e32 v[116:117], s[6:7], v[4:5]
	v_fmac_f64_e32 v[114:115], s[6:7], v[4:5]
	v_add_f64 v[4:5], v[56:57], v[0:1]
	v_fmac_f64_e32 v[0:1], -0.5, v[92:93]
	v_fma_f64 v[118:119], s[10:11], v[84:85], v[0:1]
	v_fmac_f64_e32 v[0:1], s[0:1], v[84:85]
	v_add_f64 v[92:93], v[68:69], -v[56:57]
	v_add_f64 v[96:97], v[72:73], -v[76:77]
	v_fmac_f64_e32 v[118:119], s[2:3], v[80:81]
	v_fmac_f64_e32 v[0:1], s[12:13], v[80:81]
	v_add_f64 v[80:81], v[82:83], v[52:53]
	v_add_f64 v[4:5], v[68:69], v[4:5]
	;; [unrolled: 1-line block ×5, first 2 shown]
	v_fmac_f64_e32 v[118:119], s[6:7], v[92:93]
	v_fmac_f64_e32 v[0:1], s[6:7], v[92:93]
	v_add_f64 v[80:81], v[80:81], v[64:65]
	v_add_f64 v[106:107], v[76:77], v[4:5]
	v_mad_i32_i24 v121, v125, 40, 0
	v_cmp_gt_u32_e64 s[0:1], 25, v123
	ds_write_b64 v120, v[88:89] offset:32
	ds_write2_b64 v121, v[80:81], v[90:91] offset1:1
	ds_write2_b64 v121, v[94:95], v[8:9] offset0:2 offset1:3
	ds_write_b64 v121, v[86:87] offset:32
	s_and_saveexec_b64 s[2:3], s[0:1]
	s_cbranch_execz .LBB0_17
; %bb.16:
	v_add_u32_e32 v4, 0x3a98, v12
	ds_write2_b64 v4, v[106:107], v[116:117] offset1:1
	v_add_u32_e32 v8, 0x3aa8, v12
	v_mov_b32_e32 v4, v0
	v_mov_b32_e32 v5, v1
	ds_write2_b64 v8, v[118:119], v[4:5] offset1:1
	ds_write_b64 v12, v[114:115] offset:15032
.LBB0_17:
	s_or_b64 exec, exec, s[2:3]
	v_lshlrev_b32_e32 v4, 5, v123
	v_sub_u32_e32 v124, v12, v4
	v_add_u32_e32 v4, 0xc00, v124
	s_waitcnt lgkmcnt(0)
	s_barrier
	ds_read2_b64 v[100:103], v4 offset0:16 offset1:141
	v_add_u32_e32 v4, 0x1400, v124
	ds_read2_b64 v[88:91], v4 offset0:10 offset1:160
	v_add_u32_e32 v4, 0x2400, v124
	v_add_u32_e32 v5, 0x1c00, v124
	ds_read2_b64 v[96:99], v4 offset0:48 offset1:173
	v_add_u32_e32 v4, 0x2c00, v124
	ds_read2_b64 v[92:95], v5 offset0:29 offset1:154
	;; [unrolled: 2-line block ×3, first 2 shown]
	v_lshlrev_b32_e32 v4, 5, v126
	ds_read2_b64 v[84:87], v5 offset0:61 offset1:186
	v_lshlrev_b32_e32 v5, 5, v125
	v_sub_u32_e32 v8, v120, v4
	v_sub_u32_e32 v9, v121, v5
	ds_read_b64 v[112:113], v124
	ds_read_b64 v[110:111], v8
	;; [unrolled: 1-line block ×3, first 2 shown]
	s_and_saveexec_b64 s[2:3], s[0:1]
	s_cbranch_execz .LBB0_19
; %bb.18:
	ds_read_b64 v[106:107], v124 offset:3000
	ds_read_b64 v[116:117], v124 offset:6200
	;; [unrolled: 1-line block ×5, first 2 shown]
.LBB0_19:
	s_or_b64 exec, exec, s[2:3]
	v_add_f64 v[130:131], v[22:23], v[26:27]
	s_mov_b32 s2, 0x134454ff
	v_fma_f64 v[130:131], -0.5, v[130:131], v[6:7]
	v_add_f64 v[16:17], v[16:17], -v[36:37]
	s_mov_b32 s3, 0xbfee6f0e
	s_mov_b32 s10, 0x4755a5e
	s_mov_b32 s15, 0x3fee6f0e
	s_mov_b32 s14, s2
	v_fma_f64 v[36:37], s[2:3], v[16:17], v[130:131]
	v_add_f64 v[20:21], v[20:21], -v[24:25]
	s_mov_b32 s11, 0xbfe2cf23
	v_add_f64 v[24:25], v[18:19], -v[22:23]
	v_add_f64 v[132:133], v[38:39], -v[26:27]
	v_fmac_f64_e32 v[130:131], s[14:15], v[16:17]
	s_mov_b32 s13, 0x3fe2cf23
	s_mov_b32 s12, s10
	v_fmac_f64_e32 v[36:37], s[10:11], v[20:21]
	v_add_f64 v[24:25], v[24:25], v[132:133]
	v_fmac_f64_e32 v[130:131], s[12:13], v[20:21]
	v_fmac_f64_e32 v[36:37], s[6:7], v[24:25]
	;; [unrolled: 1-line block ×3, first 2 shown]
	v_add_f64 v[24:25], v[18:19], v[38:39]
	v_sub_u32_e32 v8, 0, v4
	v_sub_u32_e32 v128, 0, v5
	v_add_f64 v[4:5], v[18:19], v[6:7]
	v_fmac_f64_e32 v[6:7], -0.5, v[24:25]
	v_add_f64 v[4:5], v[22:23], v[4:5]
	v_fma_f64 v[24:25], s[14:15], v[20:21], v[6:7]
	v_add_f64 v[18:19], v[22:23], -v[18:19]
	v_add_f64 v[22:23], v[26:27], -v[38:39]
	v_fmac_f64_e32 v[6:7], s[2:3], v[20:21]
	v_fmac_f64_e32 v[24:25], s[10:11], v[16:17]
	v_add_f64 v[18:19], v[18:19], v[22:23]
	v_fmac_f64_e32 v[6:7], s[12:13], v[16:17]
	v_fmac_f64_e32 v[24:25], s[6:7], v[18:19]
	;; [unrolled: 1-line block ×3, first 2 shown]
	v_add_f64 v[18:19], v[30:31], v[42:43]
	v_fma_f64 v[18:19], -0.5, v[18:19], v[10:11]
	v_add_f64 v[20:21], v[32:33], -v[44:45]
	v_add_f64 v[4:5], v[26:27], v[4:5]
	v_fma_f64 v[22:23], s[2:3], v[20:21], v[18:19]
	v_add_f64 v[26:27], v[28:29], -v[40:41]
	v_add_f64 v[28:29], v[34:35], -v[30:31]
	v_add_f64 v[32:33], v[46:47], -v[42:43]
	v_fmac_f64_e32 v[18:19], s[14:15], v[20:21]
	v_fmac_f64_e32 v[22:23], s[10:11], v[26:27]
	v_add_f64 v[28:29], v[32:33], v[28:29]
	v_fmac_f64_e32 v[18:19], s[12:13], v[26:27]
	v_fmac_f64_e32 v[22:23], s[6:7], v[28:29]
	;; [unrolled: 1-line block ×3, first 2 shown]
	v_add_f64 v[28:29], v[46:47], v[34:35]
	v_add_f64 v[16:17], v[10:11], v[34:35]
	v_fmac_f64_e32 v[10:11], -0.5, v[28:29]
	v_add_f64 v[16:17], v[30:31], v[16:17]
	v_fma_f64 v[28:29], s[14:15], v[26:27], v[10:11]
	v_add_f64 v[30:31], v[30:31], -v[34:35]
	v_add_f64 v[32:33], v[42:43], -v[46:47]
	v_fmac_f64_e32 v[10:11], s[2:3], v[26:27]
	v_fmac_f64_e32 v[28:29], s[10:11], v[20:21]
	v_add_f64 v[30:31], v[32:33], v[30:31]
	v_fmac_f64_e32 v[10:11], s[12:13], v[20:21]
	v_add_f64 v[26:27], v[54:55], v[62:63]
	v_fmac_f64_e32 v[28:29], s[6:7], v[30:31]
	v_fmac_f64_e32 v[10:11], s[6:7], v[30:31]
	v_fma_f64 v[26:27], -0.5, v[26:27], v[14:15]
	v_add_f64 v[30:31], v[48:49], -v[64:65]
	v_add_f64 v[4:5], v[38:39], v[4:5]
	v_fma_f64 v[32:33], s[2:3], v[30:31], v[26:27]
	v_add_f64 v[34:35], v[52:53], -v[60:61]
	v_add_f64 v[38:39], v[50:51], -v[54:55]
	;; [unrolled: 1-line block ×3, first 2 shown]
	v_fmac_f64_e32 v[26:27], s[14:15], v[30:31]
	v_fmac_f64_e32 v[32:33], s[10:11], v[34:35]
	v_add_f64 v[38:39], v[38:39], v[40:41]
	v_fmac_f64_e32 v[26:27], s[12:13], v[34:35]
	v_fmac_f64_e32 v[32:33], s[6:7], v[38:39]
	;; [unrolled: 1-line block ×3, first 2 shown]
	v_add_f64 v[38:39], v[50:51], v[66:67]
	v_add_f64 v[20:21], v[14:15], v[50:51]
	v_fmac_f64_e32 v[14:15], -0.5, v[38:39]
	v_fma_f64 v[38:39], s[14:15], v[34:35], v[14:15]
	v_fmac_f64_e32 v[14:15], s[2:3], v[34:35]
	v_fmac_f64_e32 v[38:39], s[10:11], v[30:31]
	;; [unrolled: 1-line block ×3, first 2 shown]
	v_add_f64 v[30:31], v[58:59], v[2:3]
	v_add_f64 v[30:31], v[70:71], v[30:31]
	;; [unrolled: 1-line block ×4, first 2 shown]
	v_add_f64 v[40:41], v[54:55], -v[50:51]
	v_add_f64 v[42:43], v[62:63], -v[66:67]
	v_add_f64 v[48:49], v[78:79], v[30:31]
	v_add_f64 v[30:31], v[74:75], v[70:71]
	v_add_f64 v[40:41], v[40:41], v[42:43]
	v_fma_f64 v[50:51], -0.5, v[30:31], v[2:3]
	v_add_f64 v[30:31], v[56:57], -v[76:77]
	v_add_f64 v[20:21], v[20:21], v[54:55]
	v_fmac_f64_e32 v[38:39], s[6:7], v[40:41]
	v_fmac_f64_e32 v[14:15], s[6:7], v[40:41]
	v_fma_f64 v[54:55], s[2:3], v[30:31], v[50:51]
	v_add_f64 v[34:35], v[68:69], -v[72:73]
	v_add_f64 v[40:41], v[58:59], -v[70:71]
	;; [unrolled: 1-line block ×3, first 2 shown]
	v_fmac_f64_e32 v[50:51], s[14:15], v[30:31]
	v_fmac_f64_e32 v[54:55], s[10:11], v[34:35]
	v_add_f64 v[40:41], v[42:43], v[40:41]
	v_fmac_f64_e32 v[50:51], s[12:13], v[34:35]
	v_fmac_f64_e32 v[54:55], s[6:7], v[40:41]
	;; [unrolled: 1-line block ×3, first 2 shown]
	v_add_f64 v[40:41], v[78:79], v[58:59]
	v_fmac_f64_e32 v[2:3], -0.5, v[40:41]
	v_fma_f64 v[56:57], s[14:15], v[34:35], v[2:3]
	v_add_f64 v[40:41], v[70:71], -v[58:59]
	v_add_f64 v[42:43], v[74:75], -v[78:79]
	v_fmac_f64_e32 v[2:3], s[2:3], v[34:35]
	v_fmac_f64_e32 v[56:57], s[10:11], v[30:31]
	v_add_f64 v[40:41], v[42:43], v[40:41]
	v_fmac_f64_e32 v[2:3], s[12:13], v[30:31]
	v_add_f64 v[20:21], v[20:21], v[62:63]
	v_fmac_f64_e32 v[56:57], s[6:7], v[40:41]
	v_fmac_f64_e32 v[2:3], s[6:7], v[40:41]
	v_add_u32_e32 v129, 0x177, v123
	v_add_f64 v[16:17], v[46:47], v[16:17]
	v_add_f64 v[20:21], v[20:21], v[66:67]
	s_waitcnt lgkmcnt(0)
	s_barrier
	ds_write2_b64 v12, v[4:5], v[36:37] offset1:1
	ds_write2_b64 v12, v[24:25], v[6:7] offset0:2 offset1:3
	ds_write_b64 v12, v[130:131] offset:32
	ds_write2_b64 v120, v[16:17], v[22:23] offset1:1
	ds_write2_b64 v120, v[28:29], v[10:11] offset0:2 offset1:3
	ds_write_b64 v120, v[18:19] offset:32
	;; [unrolled: 3-line block ×3, first 2 shown]
	s_and_saveexec_b64 s[2:3], s[0:1]
	s_cbranch_execz .LBB0_21
; %bb.20:
	v_mad_u32_u24 v6, v129, 40, 0
	v_mov_b32_e32 v4, v2
	v_mov_b32_e32 v5, v3
	ds_write2_b64 v6, v[48:49], v[54:55] offset1:1
	ds_write2_b64 v6, v[56:57], v[4:5] offset0:2 offset1:3
	ds_write_b64 v6, v[50:51] offset:32
.LBB0_21:
	s_or_b64 exec, exec, s[2:3]
	v_add_u32_e32 v4, 0xc00, v124
	s_waitcnt lgkmcnt(0)
	s_barrier
	ds_read2_b64 v[24:27], v4 offset0:16 offset1:141
	v_add_u32_e32 v4, 0x1400, v124
	ds_read2_b64 v[12:15], v4 offset0:10 offset1:160
	v_add_u32_e32 v4, 0x2400, v124
	v_add_u32_e32 v127, v120, v8
	;; [unrolled: 1-line block ×3, first 2 shown]
	ds_read2_b64 v[20:23], v4 offset0:48 offset1:173
	v_add_u32_e32 v4, 0x2c00, v124
	ds_read2_b64 v[16:19], v8 offset0:29 offset1:154
	v_add_u32_e32 v8, 0x3400, v124
	ds_read2_b64 v[4:7], v4 offset0:42 offset1:192
	ds_read2_b64 v[8:11], v8 offset0:61 offset1:186
	v_add_u32_e32 v128, v121, v128
	ds_read_b64 v[32:33], v124
	ds_read_b64 v[30:31], v127
	;; [unrolled: 1-line block ×3, first 2 shown]
	s_and_saveexec_b64 s[2:3], s[0:1]
	s_cbranch_execz .LBB0_23
; %bb.22:
	ds_read_b64 v[48:49], v124 offset:3000
	ds_read_b64 v[54:55], v124 offset:6200
	;; [unrolled: 1-line block ×5, first 2 shown]
.LBB0_23:
	s_or_b64 exec, exec, s[2:3]
	s_movk_i32 s2, 0xcd
	v_mul_lo_u16_sdwa v34, v123, s2 dst_sel:DWORD dst_unused:UNUSED_PAD src0_sel:BYTE_0 src1_sel:DWORD
	v_lshrrev_b16_e32 v58, 10, v34
	v_mul_lo_u16_e32 v34, 5, v58
	v_sub_u16_e32 v59, v123, v34
	v_mov_b32_e32 v52, 6
	v_lshlrev_b32_sdwa v34, v52, v59 dst_sel:DWORD dst_unused:UNUSED_PAD src0_sel:DWORD src1_sel:BYTE_0
	global_load_dwordx4 v[60:63], v34, s[4:5] offset:48
	global_load_dwordx4 v[64:67], v34, s[4:5] offset:32
	;; [unrolled: 1-line block ×3, first 2 shown]
	global_load_dwordx4 v[44:47], v34, s[4:5]
	s_mov_b32 s10, 0x4755a5e
	s_mov_b32 s15, 0xbfee6f0e
	s_mov_b32 s11, 0x3fe2cf23
	s_mov_b32 s13, 0xbfe2cf23
	s_mov_b32 s12, s10
	s_waitcnt vmcnt(0) lgkmcnt(8)
	v_mul_f64 v[34:35], v[24:25], v[46:47]
	v_fma_f64 v[42:43], v[100:101], v[44:45], -v[34:35]
	v_mul_f64 v[34:35], v[100:101], v[46:47]
	v_fmac_f64_e32 v[34:35], v[24:25], v[44:45]
	s_waitcnt lgkmcnt(7)
	v_mul_f64 v[24:25], v[14:15], v[38:39]
	v_fma_f64 v[40:41], v[90:91], v[36:37], -v[24:25]
	v_mul_f64 v[24:25], v[90:91], v[38:39]
	v_fmac_f64_e32 v[24:25], v[14:15], v[36:37]
	s_waitcnt lgkmcnt(6)
	v_mul_f64 v[14:15], v[20:21], v[66:67]
	v_mul_f64 v[38:39], v[82:83], v[62:63]
	v_fma_f64 v[44:45], v[96:97], v[64:65], -v[14:15]
	s_waitcnt lgkmcnt(4)
	v_mul_f64 v[14:15], v[6:7], v[62:63]
	v_fmac_f64_e32 v[38:39], v[6:7], v[60:61]
	v_mul_lo_u16_sdwa v6, v126, s2 dst_sel:DWORD dst_unused:UNUSED_PAD src0_sel:BYTE_0 src1_sel:DWORD
	v_lshrrev_b16_e32 v6, 10, v6
	v_mul_lo_u16_e32 v7, 5, v6
	v_sub_u16_e32 v7, v126, v7
	v_fma_f64 v[46:47], v[82:83], v[60:61], -v[14:15]
	v_lshlrev_b32_sdwa v14, v52, v7 dst_sel:DWORD dst_unused:UNUSED_PAD src0_sel:DWORD src1_sel:BYTE_0
	v_mul_f64 v[36:37], v[96:97], v[66:67]
	global_load_dwordx4 v[66:69], v14, s[4:5] offset:48
	global_load_dwordx4 v[76:79], v14, s[4:5] offset:32
	;; [unrolled: 1-line block ×3, first 2 shown]
	global_load_dwordx4 v[70:73], v14, s[4:5]
	v_fmac_f64_e32 v[36:37], v[20:21], v[64:65]
	s_mov_b32 s2, 0xcccd
	s_waitcnt vmcnt(0)
	v_mul_f64 v[14:15], v[26:27], v[72:73]
	v_fma_f64 v[64:65], v[102:103], v[70:71], -v[14:15]
	v_mul_f64 v[52:53], v[102:103], v[72:73]
	v_mul_f64 v[14:15], v[16:17], v[62:63]
	v_fmac_f64_e32 v[52:53], v[26:27], v[70:71]
	v_fma_f64 v[72:73], v[92:93], v[60:61], -v[14:15]
	v_mul_f64 v[26:27], v[92:93], v[62:63]
	v_mul_f64 v[14:15], v[22:23], v[78:79]
	;; [unrolled: 1-line block ×3, first 2 shown]
	v_fma_f64 v[74:75], v[98:99], v[76:77], -v[14:15]
	s_waitcnt lgkmcnt(3)
	v_mul_f64 v[14:15], v[8:9], v[68:69]
	v_fmac_f64_e32 v[62:63], v[8:9], v[66:67]
	v_mul_u32_u24_sdwa v8, v125, s2 dst_sel:DWORD dst_unused:UNUSED_PAD src0_sel:WORD_0 src1_sel:DWORD
	v_lshrrev_b32_e32 v134, 18, v8
	v_mul_lo_u16_e32 v8, 5, v134
	v_sub_u16_e32 v135, v125, v8
	v_fmac_f64_e32 v[26:27], v[16:17], v[60:61]
	v_mul_f64 v[60:61], v[98:99], v[78:79]
	v_lshlrev_b32_e32 v8, 6, v135
	v_fmac_f64_e32 v[60:61], v[22:23], v[76:77]
	v_fma_f64 v[76:77], v[84:85], v[66:67], -v[14:15]
	global_load_dwordx4 v[14:17], v8, s[4:5] offset:48
	global_load_dwordx4 v[20:23], v8, s[4:5] offset:32
	;; [unrolled: 1-line block ×3, first 2 shown]
	global_load_dwordx4 v[82:85], v8, s[4:5]
	s_waitcnt vmcnt(0)
	v_mul_f64 v[8:9], v[12:13], v[84:85]
	v_fma_f64 v[90:91], v[88:89], v[82:83], -v[8:9]
	v_mul_f64 v[8:9], v[18:19], v[68:69]
	v_mul_f64 v[78:79], v[88:89], v[84:85]
	v_fma_f64 v[88:89], v[94:95], v[66:67], -v[8:9]
	v_mul_f64 v[8:9], v[4:5], v[22:23]
	v_fma_f64 v[92:93], v[80:81], v[20:21], -v[8:9]
	v_mul_f64 v[80:81], v[80:81], v[22:23]
	v_fmac_f64_e32 v[80:81], v[4:5], v[20:21]
	v_mul_f64 v[4:5], v[10:11], v[16:17]
	v_fmac_f64_e32 v[78:79], v[12:13], v[82:83]
	v_mul_f64 v[82:83], v[94:95], v[68:69]
	v_fma_f64 v[94:95], v[86:87], v[14:15], -v[4:5]
	v_mul_u32_u24_sdwa v4, v129, s2 dst_sel:DWORD dst_unused:UNUSED_PAD src0_sel:WORD_0 src1_sel:DWORD
	v_lshrrev_b32_e32 v136, 18, v4
	v_mul_lo_u16_e32 v4, 5, v136
	v_sub_u16_e32 v137, v129, v4
	v_mul_f64 v[84:85], v[86:87], v[16:17]
	v_lshlrev_b32_e32 v4, 6, v137
	v_fmac_f64_e32 v[82:83], v[18:19], v[66:67]
	v_fmac_f64_e32 v[84:85], v[10:11], v[14:15]
	global_load_dwordx4 v[8:11], v4, s[4:5] offset:48
	global_load_dwordx4 v[12:15], v4, s[4:5] offset:32
	;; [unrolled: 1-line block ×3, first 2 shown]
	global_load_dwordx4 v[20:23], v4, s[4:5]
	s_mov_b32 s2, 0x134454ff
	s_mov_b32 s3, 0x3fee6f0e
	;; [unrolled: 1-line block ×3, first 2 shown]
	v_add_f64 v[66:67], v[94:95], -v[92:93]
	v_add_f64 v[68:69], v[92:93], -v[94:95]
	s_waitcnt lgkmcnt(0)
	s_barrier
	s_waitcnt vmcnt(3)
	v_mul_f64 v[100:101], v[114:115], v[10:11]
	s_waitcnt vmcnt(2)
	v_mul_f64 v[98:99], v[0:1], v[14:15]
	v_fmac_f64_e32 v[98:99], v[2:3], v[12:13]
	s_waitcnt vmcnt(0)
	v_mul_f64 v[4:5], v[54:55], v[22:23]
	v_fma_f64 v[102:103], v[116:117], v[20:21], -v[4:5]
	v_mul_f64 v[4:5], v[56:57], v[18:19]
	v_mul_f64 v[86:87], v[116:117], v[22:23]
	v_fma_f64 v[116:117], v[118:119], v[16:17], -v[4:5]
	v_mul_f64 v[4:5], v[2:3], v[14:15]
	v_add_f64 v[2:3], v[40:41], v[44:45]
	v_mul_f64 v[96:97], v[118:119], v[18:19]
	v_fma_f64 v[118:119], v[0:1], v[12:13], -v[4:5]
	v_mul_f64 v[0:1], v[50:51], v[10:11]
	v_fma_f64 v[2:3], -0.5, v[2:3], v[112:113]
	v_add_f64 v[4:5], v[34:35], -v[38:39]
	v_fma_f64 v[120:121], v[114:115], v[8:9], -v[0:1]
	v_fmac_f64_e32 v[100:101], v[50:51], v[8:9]
	v_fma_f64 v[8:9], s[2:3], v[4:5], v[2:3]
	v_add_f64 v[10:11], v[24:25], -v[36:37]
	v_add_f64 v[12:13], v[42:43], -v[40:41]
	;; [unrolled: 1-line block ×3, first 2 shown]
	v_fmac_f64_e32 v[2:3], s[14:15], v[4:5]
	v_fmac_f64_e32 v[8:9], s[10:11], v[10:11]
	v_add_f64 v[12:13], v[12:13], v[14:15]
	v_fmac_f64_e32 v[2:3], s[12:13], v[10:11]
	v_fmac_f64_e32 v[8:9], s[6:7], v[12:13]
	v_fmac_f64_e32 v[2:3], s[6:7], v[12:13]
	v_add_f64 v[12:13], v[42:43], v[46:47]
	v_add_f64 v[0:1], v[112:113], v[42:43]
	v_fmac_f64_e32 v[112:113], -0.5, v[12:13]
	v_fmac_f64_e32 v[96:97], v[56:57], v[16:17]
	v_fma_f64 v[12:13], s[14:15], v[10:11], v[112:113]
	v_add_f64 v[14:15], v[40:41], -v[42:43]
	v_add_f64 v[16:17], v[44:45], -v[46:47]
	v_fmac_f64_e32 v[112:113], s[2:3], v[10:11]
	v_fmac_f64_e32 v[12:13], s[10:11], v[4:5]
	v_add_f64 v[14:15], v[14:15], v[16:17]
	v_fmac_f64_e32 v[112:113], s[12:13], v[4:5]
	v_add_f64 v[10:11], v[72:73], v[74:75]
	v_fmac_f64_e32 v[12:13], s[6:7], v[14:15]
	v_fmac_f64_e32 v[112:113], s[6:7], v[14:15]
	v_fma_f64 v[10:11], -0.5, v[10:11], v[110:111]
	v_add_f64 v[14:15], v[52:53], -v[62:63]
	v_fmac_f64_e32 v[86:87], v[54:55], v[20:21]
	v_fma_f64 v[16:17], s[2:3], v[14:15], v[10:11]
	v_add_f64 v[18:19], v[26:27], -v[60:61]
	v_add_f64 v[20:21], v[64:65], -v[72:73]
	;; [unrolled: 1-line block ×3, first 2 shown]
	v_fmac_f64_e32 v[10:11], s[14:15], v[14:15]
	v_fmac_f64_e32 v[16:17], s[10:11], v[18:19]
	v_add_f64 v[20:21], v[20:21], v[22:23]
	v_fmac_f64_e32 v[10:11], s[12:13], v[18:19]
	v_fmac_f64_e32 v[16:17], s[6:7], v[20:21]
	;; [unrolled: 1-line block ×3, first 2 shown]
	v_add_f64 v[20:21], v[64:65], v[76:77]
	v_add_f64 v[4:5], v[110:111], v[64:65]
	v_fmac_f64_e32 v[110:111], -0.5, v[20:21]
	v_fma_f64 v[20:21], s[14:15], v[18:19], v[110:111]
	v_add_f64 v[22:23], v[72:73], -v[64:65]
	v_add_f64 v[50:51], v[74:75], -v[76:77]
	v_fmac_f64_e32 v[110:111], s[2:3], v[18:19]
	v_fmac_f64_e32 v[20:21], s[10:11], v[14:15]
	v_add_f64 v[22:23], v[22:23], v[50:51]
	v_fmac_f64_e32 v[110:111], s[12:13], v[14:15]
	v_add_f64 v[18:19], v[88:89], v[92:93]
	v_fmac_f64_e32 v[20:21], s[6:7], v[22:23]
	v_fmac_f64_e32 v[110:111], s[6:7], v[22:23]
	v_fma_f64 v[18:19], -0.5, v[18:19], v[108:109]
	v_add_f64 v[22:23], v[78:79], -v[84:85]
	v_fma_f64 v[54:55], s[2:3], v[22:23], v[18:19]
	v_add_f64 v[50:51], v[82:83], -v[80:81]
	v_add_f64 v[56:57], v[90:91], -v[88:89]
	v_fmac_f64_e32 v[18:19], s[14:15], v[22:23]
	v_fmac_f64_e32 v[54:55], s[10:11], v[50:51]
	v_add_f64 v[56:57], v[56:57], v[66:67]
	v_fmac_f64_e32 v[18:19], s[12:13], v[50:51]
	v_fmac_f64_e32 v[54:55], s[6:7], v[56:57]
	;; [unrolled: 1-line block ×3, first 2 shown]
	v_add_f64 v[56:57], v[90:91], v[94:95]
	v_add_f64 v[14:15], v[108:109], v[90:91]
	v_fmac_f64_e32 v[108:109], -0.5, v[56:57]
	v_fma_f64 v[56:57], s[14:15], v[50:51], v[108:109]
	v_fmac_f64_e32 v[108:109], s[2:3], v[50:51]
	v_fmac_f64_e32 v[56:57], s[10:11], v[22:23]
	;; [unrolled: 1-line block ×3, first 2 shown]
	v_add_f64 v[22:23], v[106:107], v[102:103]
	v_add_f64 v[22:23], v[22:23], v[116:117]
	v_add_f64 v[66:67], v[88:89], -v[90:91]
	v_add_f64 v[22:23], v[22:23], v[118:119]
	v_add_f64 v[66:67], v[66:67], v[68:69]
	;; [unrolled: 1-line block ×4, first 2 shown]
	v_fmac_f64_e32 v[56:57], s[6:7], v[66:67]
	v_fmac_f64_e32 v[108:109], s[6:7], v[66:67]
	v_fma_f64 v[66:67], -0.5, v[22:23], v[106:107]
	v_add_f64 v[22:23], v[86:87], -v[100:101]
	v_fma_f64 v[68:69], s[2:3], v[22:23], v[66:67]
	v_add_f64 v[114:115], v[96:97], -v[98:99]
	v_add_f64 v[70:71], v[102:103], -v[116:117]
	;; [unrolled: 1-line block ×3, first 2 shown]
	v_fmac_f64_e32 v[66:67], s[14:15], v[22:23]
	v_fmac_f64_e32 v[68:69], s[10:11], v[114:115]
	v_add_f64 v[70:71], v[70:71], v[130:131]
	v_fmac_f64_e32 v[66:67], s[12:13], v[114:115]
	v_fmac_f64_e32 v[68:69], s[6:7], v[70:71]
	;; [unrolled: 1-line block ×3, first 2 shown]
	v_add_f64 v[70:71], v[102:103], v[120:121]
	v_fmac_f64_e32 v[106:107], -0.5, v[70:71]
	v_fma_f64 v[70:71], s[14:15], v[114:115], v[106:107]
	v_fmac_f64_e32 v[106:107], s[2:3], v[114:115]
	v_add_f64 v[0:1], v[0:1], v[40:41]
	v_fmac_f64_e32 v[70:71], s[10:11], v[22:23]
	v_fmac_f64_e32 v[106:107], s[12:13], v[22:23]
	v_mov_b32_e32 v23, 3
	v_add_f64 v[0:1], v[0:1], v[44:45]
	v_mul_u32_u24_e32 v22, 0xc8, v58
	v_lshlrev_b32_sdwa v58, v23, v59 dst_sel:DWORD dst_unused:UNUSED_PAD src0_sel:DWORD src1_sel:BYTE_0
	v_add_f64 v[0:1], v[0:1], v[46:47]
	v_add_f64 v[4:5], v[4:5], v[72:73]
	v_add3_u32 v114, 0, v22, v58
	v_add_f64 v[4:5], v[4:5], v[74:75]
	v_add_f64 v[14:15], v[14:15], v[88:89]
	ds_write2_b64 v114, v[0:1], v[8:9] offset1:5
	ds_write2_b64 v114, v[12:13], v[112:113] offset0:10 offset1:15
	ds_write_b64 v114, v[2:3] offset:160
	v_mul_u32_u24_e32 v0, 0xc8, v6
	v_lshlrev_b32_sdwa v1, v23, v7 dst_sel:DWORD dst_unused:UNUSED_PAD src0_sel:DWORD src1_sel:BYTE_0
	v_add_f64 v[4:5], v[4:5], v[76:77]
	v_add_f64 v[14:15], v[14:15], v[92:93]
	v_add_f64 v[130:131], v[116:117], -v[102:103]
	v_add_f64 v[132:133], v[118:119], -v[120:121]
	v_add3_u32 v112, 0, v0, v1
	v_mul_u32_u24_e32 v0, 0xc8, v134
	v_lshlrev_b32_e32 v1, 3, v135
	v_add_f64 v[14:15], v[14:15], v[94:95]
	v_add_f64 v[130:131], v[130:131], v[132:133]
	ds_write2_b64 v112, v[4:5], v[16:17] offset1:5
	ds_write2_b64 v112, v[20:21], v[110:111] offset0:10 offset1:15
	ds_write_b64 v112, v[10:11] offset:160
	v_add3_u32 v111, 0, v0, v1
	v_fmac_f64_e32 v[70:71], s[6:7], v[130:131]
	v_fmac_f64_e32 v[106:107], s[6:7], v[130:131]
	ds_write2_b64 v111, v[14:15], v[54:55] offset1:5
	ds_write2_b64 v111, v[56:57], v[108:109] offset0:10 offset1:15
	ds_write_b64 v111, v[18:19] offset:160
	v_mul_lo_u16_e32 v109, 25, v136
	v_lshlrev_b32_e32 v110, 3, v137
	s_and_saveexec_b64 s[2:3], s[0:1]
	s_cbranch_execz .LBB0_25
; %bb.24:
	v_lshlrev_b32_e32 v0, 3, v109
	v_add3_u32 v0, 0, v110, v0
	ds_write2_b64 v0, v[50:51], v[68:69] offset1:5
	ds_write2_b64 v0, v[70:71], v[106:107] offset0:10 offset1:15
	ds_write_b64 v0, v[66:67] offset:160
.LBB0_25:
	s_or_b64 exec, exec, s[2:3]
	v_add_u32_e32 v0, 0xc00, v124
	s_waitcnt lgkmcnt(0)
	s_barrier
	ds_read2_b64 v[20:23], v0 offset0:16 offset1:141
	v_add_u32_e32 v0, 0x1400, v124
	ds_read2_b64 v[8:11], v0 offset0:10 offset1:160
	v_add_u32_e32 v0, 0x2400, v124
	v_add_u32_e32 v4, 0x1c00, v124
	ds_read2_b64 v[16:19], v0 offset0:48 offset1:173
	v_add_u32_e32 v0, 0x2c00, v124
	ds_read2_b64 v[12:15], v4 offset0:29 offset1:154
	;; [unrolled: 2-line block ×3, first 2 shown]
	ds_read2_b64 v[4:7], v4 offset0:61 offset1:186
	ds_read_b64 v[58:59], v124
	ds_read_b64 v[56:57], v127
	;; [unrolled: 1-line block ×3, first 2 shown]
	v_lshl_add_u32 v108, v123, 3, 0
	s_and_saveexec_b64 s[2:3], s[0:1]
	s_cbranch_execz .LBB0_27
; %bb.26:
	ds_read_b64 v[50:51], v108 offset:3000
	ds_read_b64 v[68:69], v124 offset:6200
	ds_read_b64 v[70:71], v124 offset:9400
	ds_read_b64 v[106:107], v124 offset:12600
	ds_read_b64 v[66:67], v124 offset:15800
.LBB0_27:
	s_or_b64 exec, exec, s[2:3]
	v_add_f64 v[132:133], v[24:25], v[36:37]
	s_mov_b32 s2, 0x134454ff
	v_fma_f64 v[132:133], -0.5, v[132:133], v[32:33]
	v_add_f64 v[42:43], v[42:43], -v[46:47]
	s_mov_b32 s3, 0xbfee6f0e
	s_mov_b32 s10, 0x4755a5e
	;; [unrolled: 1-line block ×4, first 2 shown]
	v_fma_f64 v[46:47], s[2:3], v[42:43], v[132:133]
	v_add_f64 v[40:41], v[40:41], -v[44:45]
	s_mov_b32 s11, 0xbfe2cf23
	v_add_f64 v[44:45], v[34:35], -v[24:25]
	v_add_f64 v[134:135], v[38:39], -v[36:37]
	v_fmac_f64_e32 v[132:133], s[14:15], v[42:43]
	s_mov_b32 s13, 0x3fe2cf23
	s_mov_b32 s12, s10
	v_add_f64 v[130:131], v[32:33], v[34:35]
	v_fmac_f64_e32 v[46:47], s[10:11], v[40:41]
	v_add_f64 v[44:45], v[44:45], v[134:135]
	v_fmac_f64_e32 v[132:133], s[12:13], v[40:41]
	;; [unrolled: 2-line block ×3, first 2 shown]
	v_fmac_f64_e32 v[132:133], s[6:7], v[44:45]
	v_add_f64 v[44:45], v[34:35], v[38:39]
	v_add_f64 v[24:25], v[24:25], -v[34:35]
	v_add_f64 v[34:35], v[36:37], -v[38:39]
	v_fmac_f64_e32 v[32:33], -0.5, v[44:45]
	v_add_f64 v[24:25], v[24:25], v[34:35]
	v_add_f64 v[34:35], v[26:27], v[60:61]
	;; [unrolled: 1-line block ×3, first 2 shown]
	v_fma_f64 v[44:45], s[14:15], v[40:41], v[32:33]
	v_fmac_f64_e32 v[32:33], s[2:3], v[40:41]
	v_fma_f64 v[34:35], -0.5, v[34:35], v[30:31]
	v_add_f64 v[36:37], v[64:65], -v[76:77]
	v_add_f64 v[130:131], v[130:131], v[38:39]
	v_fmac_f64_e32 v[44:45], s[10:11], v[42:43]
	v_fmac_f64_e32 v[32:33], s[12:13], v[42:43]
	v_fma_f64 v[38:39], s[2:3], v[36:37], v[34:35]
	v_add_f64 v[40:41], v[72:73], -v[74:75]
	v_add_f64 v[42:43], v[52:53], -v[26:27]
	;; [unrolled: 1-line block ×3, first 2 shown]
	v_fmac_f64_e32 v[34:35], s[14:15], v[36:37]
	v_fmac_f64_e32 v[38:39], s[10:11], v[40:41]
	v_add_f64 v[42:43], v[42:43], v[64:65]
	v_fmac_f64_e32 v[34:35], s[12:13], v[40:41]
	v_fmac_f64_e32 v[38:39], s[6:7], v[42:43]
	;; [unrolled: 1-line block ×3, first 2 shown]
	v_add_f64 v[42:43], v[52:53], v[62:63]
	v_fmac_f64_e32 v[44:45], s[6:7], v[24:25]
	v_fmac_f64_e32 v[32:33], s[6:7], v[24:25]
	v_add_f64 v[24:25], v[30:31], v[52:53]
	v_fmac_f64_e32 v[30:31], -0.5, v[42:43]
	v_fma_f64 v[42:43], s[14:15], v[40:41], v[30:31]
	v_fmac_f64_e32 v[30:31], s[2:3], v[40:41]
	v_add_f64 v[24:25], v[24:25], v[26:27]
	v_fmac_f64_e32 v[42:43], s[10:11], v[36:37]
	v_fmac_f64_e32 v[30:31], s[12:13], v[36:37]
	v_add_f64 v[36:37], v[82:83], v[80:81]
	v_add_f64 v[24:25], v[24:25], v[60:61]
	v_add_f64 v[26:27], v[26:27], -v[52:53]
	v_add_f64 v[52:53], v[60:61], -v[62:63]
	v_fma_f64 v[36:37], -0.5, v[36:37], v[28:29]
	v_add_f64 v[40:41], v[90:91], -v[94:95]
	v_add_f64 v[24:25], v[24:25], v[62:63]
	v_add_f64 v[26:27], v[26:27], v[52:53]
	v_fma_f64 v[60:61], s[2:3], v[40:41], v[36:37]
	v_add_f64 v[52:53], v[88:89], -v[92:93]
	v_add_f64 v[62:63], v[78:79], -v[82:83]
	;; [unrolled: 1-line block ×3, first 2 shown]
	v_fmac_f64_e32 v[36:37], s[14:15], v[40:41]
	v_fmac_f64_e32 v[60:61], s[10:11], v[52:53]
	v_add_f64 v[62:63], v[62:63], v[64:65]
	v_fmac_f64_e32 v[36:37], s[12:13], v[52:53]
	v_fmac_f64_e32 v[60:61], s[6:7], v[62:63]
	;; [unrolled: 1-line block ×3, first 2 shown]
	v_add_f64 v[62:63], v[78:79], v[84:85]
	v_fmac_f64_e32 v[42:43], s[6:7], v[26:27]
	v_fmac_f64_e32 v[30:31], s[6:7], v[26:27]
	v_add_f64 v[26:27], v[28:29], v[78:79]
	v_fmac_f64_e32 v[28:29], -0.5, v[62:63]
	v_fma_f64 v[62:63], s[14:15], v[52:53], v[28:29]
	v_fmac_f64_e32 v[28:29], s[2:3], v[52:53]
	v_fmac_f64_e32 v[62:63], s[10:11], v[40:41]
	;; [unrolled: 1-line block ×3, first 2 shown]
	v_add_f64 v[40:41], v[48:49], v[86:87]
	v_add_f64 v[40:41], v[40:41], v[96:97]
	v_add_f64 v[40:41], v[40:41], v[98:99]
	v_add_f64 v[64:65], v[82:83], -v[78:79]
	v_add_f64 v[72:73], v[80:81], -v[84:85]
	v_add_f64 v[52:53], v[40:41], v[100:101]
	v_add_f64 v[40:41], v[96:97], v[98:99]
	;; [unrolled: 1-line block ×3, first 2 shown]
	v_fma_f64 v[74:75], -0.5, v[40:41], v[48:49]
	v_add_f64 v[40:41], v[102:103], -v[120:121]
	v_fmac_f64_e32 v[62:63], s[6:7], v[64:65]
	v_fmac_f64_e32 v[28:29], s[6:7], v[64:65]
	v_fma_f64 v[76:77], s[2:3], v[40:41], v[74:75]
	v_add_f64 v[64:65], v[116:117], -v[118:119]
	v_add_f64 v[72:73], v[86:87], -v[96:97]
	v_add_f64 v[78:79], v[100:101], -v[98:99]
	v_fmac_f64_e32 v[74:75], s[14:15], v[40:41]
	v_fmac_f64_e32 v[76:77], s[10:11], v[64:65]
	v_add_f64 v[72:73], v[72:73], v[78:79]
	v_fmac_f64_e32 v[74:75], s[12:13], v[64:65]
	v_fmac_f64_e32 v[76:77], s[6:7], v[72:73]
	;; [unrolled: 1-line block ×3, first 2 shown]
	v_add_f64 v[72:73], v[86:87], v[100:101]
	v_add_f64 v[26:27], v[26:27], v[82:83]
	v_fmac_f64_e32 v[48:49], -0.5, v[72:73]
	v_add_f64 v[26:27], v[26:27], v[80:81]
	v_fma_f64 v[78:79], s[14:15], v[64:65], v[48:49]
	v_add_f64 v[72:73], v[96:97], -v[86:87]
	v_add_f64 v[80:81], v[98:99], -v[100:101]
	v_fmac_f64_e32 v[48:49], s[2:3], v[64:65]
	v_fmac_f64_e32 v[78:79], s[10:11], v[40:41]
	v_add_f64 v[72:73], v[72:73], v[80:81]
	v_fmac_f64_e32 v[48:49], s[12:13], v[40:41]
	v_fmac_f64_e32 v[78:79], s[6:7], v[72:73]
	;; [unrolled: 1-line block ×3, first 2 shown]
	v_add_f64 v[26:27], v[26:27], v[84:85]
	s_waitcnt lgkmcnt(0)
	s_barrier
	ds_write2_b64 v114, v[130:131], v[46:47] offset1:5
	ds_write2_b64 v114, v[44:45], v[32:33] offset0:10 offset1:15
	ds_write_b64 v114, v[132:133] offset:160
	ds_write2_b64 v112, v[24:25], v[38:39] offset1:5
	ds_write2_b64 v112, v[42:43], v[30:31] offset0:10 offset1:15
	ds_write_b64 v112, v[34:35] offset:160
	;; [unrolled: 3-line block ×3, first 2 shown]
	s_and_saveexec_b64 s[2:3], s[0:1]
	s_cbranch_execz .LBB0_29
; %bb.28:
	v_lshlrev_b32_e32 v24, 3, v109
	v_add3_u32 v24, 0, v110, v24
	ds_write2_b64 v24, v[52:53], v[76:77] offset1:5
	ds_write2_b64 v24, v[78:79], v[48:49] offset0:10 offset1:15
	ds_write_b64 v24, v[74:75] offset:160
.LBB0_29:
	s_or_b64 exec, exec, s[2:3]
	v_add_u32_e32 v24, 0xc00, v124
	s_waitcnt lgkmcnt(0)
	s_barrier
	ds_read2_b64 v[44:47], v24 offset0:16 offset1:141
	v_add_u32_e32 v24, 0x1400, v124
	ds_read2_b64 v[32:35], v24 offset0:10 offset1:160
	v_add_u32_e32 v24, 0x2400, v124
	v_add_u32_e32 v28, 0x1c00, v124
	ds_read2_b64 v[40:43], v24 offset0:48 offset1:173
	v_add_u32_e32 v24, 0x2c00, v124
	ds_read2_b64 v[36:39], v28 offset0:29 offset1:154
	;; [unrolled: 2-line block ×3, first 2 shown]
	ds_read2_b64 v[28:31], v28 offset0:61 offset1:186
	ds_read_b64 v[64:65], v124
	ds_read_b64 v[62:63], v127
	;; [unrolled: 1-line block ×3, first 2 shown]
	s_and_saveexec_b64 s[2:3], s[0:1]
	s_cbranch_execz .LBB0_31
; %bb.30:
	ds_read_b64 v[52:53], v108 offset:3000
	ds_read_b64 v[76:77], v124 offset:6200
	;; [unrolled: 1-line block ×5, first 2 shown]
.LBB0_31:
	s_or_b64 exec, exec, s[2:3]
	v_mov_b32_e32 v98, 41
	v_mul_lo_u16_sdwa v72, v123, v98 dst_sel:DWORD dst_unused:UNUSED_PAD src0_sel:BYTE_0 src1_sel:DWORD
	v_lshrrev_b16_e32 v84, 10, v72
	v_mul_lo_u16_e32 v72, 25, v84
	v_sub_u16_e32 v85, v123, v72
	v_mov_b32_e32 v99, 6
	v_lshlrev_b32_sdwa v72, v99, v85 dst_sel:DWORD dst_unused:UNUSED_PAD src0_sel:DWORD src1_sel:BYTE_0
	global_load_dwordx4 v[80:83], v72, s[4:5] offset:368
	global_load_dwordx4 v[86:89], v72, s[4:5] offset:352
	;; [unrolled: 1-line block ×4, first 2 shown]
	s_movk_i32 s2, 0x47af
	s_mov_b32 s6, 0x134454ff
	s_mov_b32 s7, 0x3fee6f0e
	;; [unrolled: 1-line block ×7, first 2 shown]
	s_waitcnt vmcnt(0) lgkmcnt(8)
	v_mul_f64 v[72:73], v[44:45], v[96:97]
	v_fma_f64 v[72:73], v[20:21], v[94:95], -v[72:73]
	v_mul_f64 v[20:21], v[20:21], v[96:97]
	v_fmac_f64_e32 v[20:21], v[44:45], v[94:95]
	s_waitcnt lgkmcnt(7)
	v_mul_f64 v[44:45], v[34:35], v[92:93]
	v_fma_f64 v[44:45], v[10:11], v[90:91], -v[44:45]
	v_mul_f64 v[10:11], v[10:11], v[92:93]
	v_fmac_f64_e32 v[10:11], v[34:35], v[90:91]
	s_waitcnt lgkmcnt(6)
	;; [unrolled: 5-line block ×3, first 2 shown]
	v_mul_f64 v[40:41], v[26:27], v[82:83]
	v_fma_f64 v[40:41], v[2:3], v[80:81], -v[40:41]
	v_mul_f64 v[2:3], v[2:3], v[82:83]
	v_fmac_f64_e32 v[2:3], v[26:27], v[80:81]
	v_mul_lo_u16_sdwa v26, v126, v98 dst_sel:DWORD dst_unused:UNUSED_PAD src0_sel:BYTE_0 src1_sel:DWORD
	v_lshrrev_b16_e32 v86, 10, v26
	v_mul_lo_u16_e32 v26, 25, v86
	v_sub_u16_e32 v87, v126, v26
	v_lshlrev_b32_sdwa v26, v99, v87 dst_sel:DWORD dst_unused:UNUSED_PAD src0_sel:DWORD src1_sel:BYTE_0
	global_load_dwordx4 v[80:83], v26, s[4:5] offset:368
	global_load_dwordx4 v[88:91], v26, s[4:5] offset:352
	;; [unrolled: 1-line block ×4, first 2 shown]
	s_waitcnt vmcnt(0)
	v_mul_f64 v[26:27], v[46:47], v[98:99]
	v_fma_f64 v[26:27], v[22:23], v[96:97], -v[26:27]
	v_mul_f64 v[22:23], v[22:23], v[98:99]
	v_fmac_f64_e32 v[22:23], v[46:47], v[96:97]
	v_mul_f64 v[46:47], v[36:37], v[94:95]
	v_fma_f64 v[46:47], v[12:13], v[92:93], -v[46:47]
	v_mul_f64 v[12:13], v[12:13], v[94:95]
	v_fmac_f64_e32 v[12:13], v[36:37], v[92:93]
	;; [unrolled: 4-line block ×3, first 2 shown]
	s_waitcnt lgkmcnt(3)
	v_mul_f64 v[42:43], v[28:29], v[82:83]
	v_fma_f64 v[42:43], v[4:5], v[80:81], -v[42:43]
	v_mul_f64 v[4:5], v[4:5], v[82:83]
	v_fmac_f64_e32 v[4:5], v[28:29], v[80:81]
	v_mul_u32_u24_sdwa v28, v125, s2 dst_sel:DWORD dst_unused:UNUSED_PAD src0_sel:WORD_0 src1_sel:DWORD
	v_sub_u16_sdwa v29, v125, v28 dst_sel:DWORD dst_unused:UNUSED_PAD src0_sel:DWORD src1_sel:WORD_1
	v_lshrrev_b16_e32 v29, 1, v29
	v_add_u16_sdwa v28, v29, v28 dst_sel:DWORD dst_unused:UNUSED_PAD src0_sel:DWORD src1_sel:WORD_1
	v_lshrrev_b16_e32 v109, 4, v28
	v_mul_lo_u16_e32 v28, 25, v109
	v_sub_u16_e32 v120, v125, v28
	v_lshlrev_b32_e32 v28, 6, v120
	global_load_dwordx4 v[80:83], v28, s[4:5] offset:368
	global_load_dwordx4 v[88:91], v28, s[4:5] offset:352
	;; [unrolled: 1-line block ×4, first 2 shown]
	v_add_f64 v[110:111], v[36:37], -v[42:43]
	s_waitcnt vmcnt(0)
	v_mul_f64 v[28:29], v[32:33], v[98:99]
	v_fma_f64 v[28:29], v[8:9], v[96:97], -v[28:29]
	v_mul_f64 v[8:9], v[8:9], v[98:99]
	v_fmac_f64_e32 v[8:9], v[32:33], v[96:97]
	v_mul_f64 v[32:33], v[38:39], v[94:95]
	v_fma_f64 v[32:33], v[14:15], v[92:93], -v[32:33]
	v_mul_f64 v[14:15], v[14:15], v[94:95]
	v_fmac_f64_e32 v[14:15], v[38:39], v[92:93]
	;; [unrolled: 4-line block ×4, first 2 shown]
	v_mul_u32_u24_sdwa v30, v129, s2 dst_sel:DWORD dst_unused:UNUSED_PAD src0_sel:WORD_0 src1_sel:DWORD
	v_sub_u16_sdwa v31, v129, v30 dst_sel:DWORD dst_unused:UNUSED_PAD src0_sel:DWORD src1_sel:WORD_1
	v_lshrrev_b16_e32 v31, 1, v31
	v_add_u16_sdwa v30, v31, v30 dst_sel:DWORD dst_unused:UNUSED_PAD src0_sel:DWORD src1_sel:WORD_1
	v_lshrrev_b16_e32 v30, 4, v30
	v_mul_lo_u16_e32 v30, 25, v30
	v_sub_u16_e32 v121, v129, v30
	v_lshlrev_b32_e32 v30, 6, v121
	global_load_dwordx4 v[88:91], v30, s[4:5] offset:368
	global_load_dwordx4 v[92:95], v30, s[4:5] offset:352
	;; [unrolled: 1-line block ×4, first 2 shown]
	s_mov_b32 s2, 0x4755a5e
	s_mov_b32 s3, 0x3fe2cf23
	;; [unrolled: 1-line block ×3, first 2 shown]
	v_add_f64 v[112:113], v[14:15], -v[0:1]
	v_add_f64 v[114:115], v[28:29], -v[32:33]
	v_add_f64 v[116:117], v[24:25], -v[38:39]
	v_add_f64 v[114:115], v[114:115], v[116:117]
	s_waitcnt lgkmcnt(0)
	s_barrier
	v_add_f64 v[116:117], v[32:33], -v[28:29]
	v_add_f64 v[118:119], v[38:39], -v[24:25]
	v_add_f64 v[116:117], v[116:117], v[118:119]
	s_waitcnt vmcnt(0)
	v_mul_f64 v[30:31], v[76:77], v[102:103]
	v_fma_f64 v[80:81], v[68:69], v[100:101], -v[30:31]
	v_mul_f64 v[30:31], v[68:69], v[102:103]
	v_mul_f64 v[68:69], v[78:79], v[98:99]
	v_fmac_f64_e32 v[30:31], v[76:77], v[100:101]
	v_fma_f64 v[76:77], v[70:71], v[96:97], -v[68:69]
	v_mul_f64 v[68:69], v[70:71], v[98:99]
	v_mul_f64 v[70:71], v[48:49], v[94:95]
	v_fmac_f64_e32 v[68:69], v[78:79], v[96:97]
	v_fma_f64 v[78:79], v[106:107], v[92:93], -v[70:71]
	v_mul_f64 v[70:71], v[106:107], v[94:95]
	v_fmac_f64_e32 v[70:71], v[48:49], v[92:93]
	v_mul_f64 v[48:49], v[74:75], v[90:91]
	v_fma_f64 v[82:83], v[66:67], v[88:89], -v[48:49]
	v_mul_f64 v[48:49], v[66:67], v[90:91]
	v_add_f64 v[66:67], v[58:59], v[72:73]
	v_add_f64 v[66:67], v[66:67], v[44:45]
	;; [unrolled: 1-line block ×3, first 2 shown]
	v_fmac_f64_e32 v[48:49], v[74:75], v[88:89]
	v_add_f64 v[74:75], v[66:67], v[40:41]
	v_add_f64 v[66:67], v[44:45], v[34:35]
	v_fma_f64 v[88:89], -0.5, v[66:67], v[58:59]
	v_add_f64 v[66:67], v[20:21], -v[2:3]
	v_fma_f64 v[90:91], s[6:7], v[66:67], v[88:89]
	v_add_f64 v[92:93], v[10:11], -v[16:17]
	v_add_f64 v[94:95], v[72:73], -v[44:45]
	v_add_f64 v[96:97], v[40:41], -v[34:35]
	v_fmac_f64_e32 v[88:89], s[12:13], v[66:67]
	v_fmac_f64_e32 v[90:91], s[2:3], v[92:93]
	v_add_f64 v[94:95], v[94:95], v[96:97]
	v_fmac_f64_e32 v[88:89], s[14:15], v[92:93]
	v_fmac_f64_e32 v[90:91], s[10:11], v[94:95]
	;; [unrolled: 1-line block ×3, first 2 shown]
	v_add_f64 v[94:95], v[72:73], v[40:41]
	v_fmac_f64_e32 v[58:59], -0.5, v[94:95]
	v_fma_f64 v[94:95], s[12:13], v[92:93], v[58:59]
	v_fmac_f64_e32 v[58:59], s[6:7], v[92:93]
	v_fmac_f64_e32 v[94:95], s[2:3], v[66:67]
	;; [unrolled: 1-line block ×3, first 2 shown]
	v_add_f64 v[66:67], v[56:57], v[26:27]
	v_add_f64 v[66:67], v[66:67], v[46:47]
	v_add_f64 v[96:97], v[44:45], -v[72:73]
	v_add_f64 v[98:99], v[34:35], -v[40:41]
	v_add_f64 v[66:67], v[66:67], v[36:37]
	v_add_f64 v[96:97], v[96:97], v[98:99]
	v_add_f64 v[92:93], v[66:67], v[42:43]
	v_add_f64 v[66:67], v[46:47], v[36:37]
	v_fmac_f64_e32 v[94:95], s[10:11], v[96:97]
	v_fmac_f64_e32 v[58:59], s[10:11], v[96:97]
	v_fma_f64 v[96:97], -0.5, v[66:67], v[56:57]
	v_add_f64 v[66:67], v[22:23], -v[4:5]
	v_fma_f64 v[98:99], s[6:7], v[66:67], v[96:97]
	v_add_f64 v[100:101], v[12:13], -v[18:19]
	v_add_f64 v[102:103], v[26:27], -v[46:47]
	;; [unrolled: 1-line block ×3, first 2 shown]
	v_fmac_f64_e32 v[96:97], s[12:13], v[66:67]
	v_fmac_f64_e32 v[98:99], s[2:3], v[100:101]
	v_add_f64 v[102:103], v[102:103], v[106:107]
	v_fmac_f64_e32 v[96:97], s[14:15], v[100:101]
	v_fmac_f64_e32 v[98:99], s[10:11], v[102:103]
	v_fmac_f64_e32 v[96:97], s[10:11], v[102:103]
	v_add_f64 v[102:103], v[26:27], v[42:43]
	v_fmac_f64_e32 v[56:57], -0.5, v[102:103]
	v_fma_f64 v[102:103], s[12:13], v[100:101], v[56:57]
	v_fmac_f64_e32 v[56:57], s[6:7], v[100:101]
	v_fmac_f64_e32 v[102:103], s[2:3], v[66:67]
	;; [unrolled: 1-line block ×3, first 2 shown]
	v_add_f64 v[66:67], v[54:55], v[28:29]
	v_add_f64 v[66:67], v[66:67], v[32:33]
	v_add_f64 v[106:107], v[46:47], -v[26:27]
	v_add_f64 v[66:67], v[66:67], v[38:39]
	v_add_f64 v[106:107], v[106:107], v[110:111]
	;; [unrolled: 1-line block ×4, first 2 shown]
	v_fmac_f64_e32 v[102:103], s[10:11], v[106:107]
	v_fmac_f64_e32 v[56:57], s[10:11], v[106:107]
	v_fma_f64 v[106:107], -0.5, v[66:67], v[54:55]
	v_add_f64 v[66:67], v[8:9], -v[6:7]
	v_fma_f64 v[110:111], s[6:7], v[66:67], v[106:107]
	v_fmac_f64_e32 v[106:107], s[12:13], v[66:67]
	v_fmac_f64_e32 v[110:111], s[2:3], v[112:113]
	;; [unrolled: 1-line block ×5, first 2 shown]
	v_add_f64 v[114:115], v[28:29], v[24:25]
	v_fmac_f64_e32 v[54:55], -0.5, v[114:115]
	v_fma_f64 v[114:115], s[12:13], v[112:113], v[54:55]
	v_fmac_f64_e32 v[54:55], s[6:7], v[112:113]
	v_fmac_f64_e32 v[114:115], s[2:3], v[66:67]
	;; [unrolled: 1-line block ×3, first 2 shown]
	v_mov_b32_e32 v67, 3
	v_mul_u32_u24_e32 v66, 0x3e8, v84
	v_lshlrev_b32_sdwa v84, v67, v85 dst_sel:DWORD dst_unused:UNUSED_PAD src0_sel:DWORD src1_sel:BYTE_0
	v_add3_u32 v66, 0, v66, v84
	ds_write2_b64 v66, v[74:75], v[90:91] offset1:25
	ds_write2_b64 v66, v[94:95], v[58:59] offset0:50 offset1:75
	ds_write_b64 v66, v[88:89] offset:800
	v_mul_u32_u24_e32 v58, 0x3e8, v86
	v_lshlrev_b32_sdwa v59, v67, v87 dst_sel:DWORD dst_unused:UNUSED_PAD src0_sel:DWORD src1_sel:BYTE_0
	v_add3_u32 v58, 0, v58, v59
	ds_write2_b64 v58, v[92:93], v[98:99] offset1:25
	ds_write2_b64 v58, v[102:103], v[56:57] offset0:50 offset1:75
	ds_write_b64 v58, v[96:97] offset:800
	v_mul_u32_u24_e32 v56, 0x3e8, v109
	v_lshlrev_b32_e32 v57, 3, v120
	v_fmac_f64_e32 v[54:55], s[10:11], v[116:117]
	v_add3_u32 v56, 0, v56, v57
	v_fmac_f64_e32 v[114:115], s[10:11], v[116:117]
	ds_write2_b64 v56, v[100:101], v[110:111] offset1:25
	ds_write2_b64 v56, v[114:115], v[54:55] offset0:50 offset1:75
	ds_write_b64 v56, v[106:107] offset:800
	v_lshl_add_u32 v54, v121, 3, 0
	s_and_saveexec_b64 s[16:17], s[0:1]
	s_cbranch_execz .LBB0_33
; %bb.32:
	v_add_f64 v[74:75], v[76:77], -v[80:81]
	v_add_f64 v[84:85], v[78:79], -v[82:83]
	v_add_f64 v[86:87], v[80:81], v[82:83]
	v_add_f64 v[74:75], v[74:75], v[84:85]
	v_add_f64 v[84:85], v[68:69], -v[70:71]
	v_fma_f64 v[86:87], -0.5, v[86:87], v[50:51]
	v_fma_f64 v[88:89], s[6:7], v[84:85], v[86:87]
	v_add_f64 v[90:91], v[30:31], -v[48:49]
	v_fmac_f64_e32 v[86:87], s[12:13], v[84:85]
	v_fmac_f64_e32 v[88:89], s[14:15], v[90:91]
	;; [unrolled: 1-line block ×5, first 2 shown]
	v_add_f64 v[74:75], v[80:81], -v[76:77]
	v_add_f64 v[92:93], v[82:83], -v[78:79]
	v_add_f64 v[74:75], v[74:75], v[92:93]
	v_add_f64 v[92:93], v[76:77], v[78:79]
	v_fma_f64 v[92:93], -0.5, v[92:93], v[50:51]
	v_add_f64 v[50:51], v[50:51], v[80:81]
	v_fma_f64 v[94:95], s[12:13], v[90:91], v[92:93]
	v_fmac_f64_e32 v[92:93], s[6:7], v[90:91]
	v_add_f64 v[50:51], v[50:51], v[76:77]
	v_fmac_f64_e32 v[92:93], s[2:3], v[84:85]
	v_add_f64 v[50:51], v[50:51], v[78:79]
	v_fmac_f64_e32 v[94:95], s[14:15], v[84:85]
	v_fmac_f64_e32 v[92:93], s[10:11], v[74:75]
	v_add_f64 v[50:51], v[50:51], v[82:83]
	v_add_u32_e32 v55, 0x3800, v54
	v_fmac_f64_e32 v[94:95], s[10:11], v[74:75]
	ds_write2_b64 v55, v[50:51], v[92:93] offset0:83 offset1:108
	ds_write2_b64 v55, v[86:87], v[88:89] offset0:133 offset1:158
	ds_write_b64 v54, v[94:95] offset:15800
.LBB0_33:
	s_or_b64 exec, exec, s[16:17]
	v_add_f64 v[74:75], v[10:11], v[16:17]
	v_fma_f64 v[74:75], -0.5, v[74:75], v[64:65]
	v_add_f64 v[40:41], v[72:73], -v[40:41]
	v_fma_f64 v[72:73], s[12:13], v[40:41], v[74:75]
	v_add_f64 v[34:35], v[44:45], -v[34:35]
	v_add_f64 v[44:45], v[20:21], -v[10:11]
	;; [unrolled: 1-line block ×3, first 2 shown]
	v_fmac_f64_e32 v[74:75], s[6:7], v[40:41]
	v_add_f64 v[50:51], v[64:65], v[20:21]
	v_fmac_f64_e32 v[72:73], s[14:15], v[34:35]
	v_add_f64 v[44:45], v[44:45], v[84:85]
	;; [unrolled: 2-line block ×3, first 2 shown]
	v_fmac_f64_e32 v[72:73], s[10:11], v[44:45]
	v_fmac_f64_e32 v[74:75], s[10:11], v[44:45]
	v_add_f64 v[44:45], v[20:21], v[2:3]
	v_add_f64 v[50:51], v[50:51], v[16:17]
	v_fmac_f64_e32 v[64:65], -0.5, v[44:45]
	v_add_f64 v[50:51], v[50:51], v[2:3]
	v_fma_f64 v[44:45], s[6:7], v[34:35], v[64:65]
	v_add_f64 v[10:11], v[10:11], -v[20:21]
	v_add_f64 v[2:3], v[16:17], -v[2:3]
	v_fmac_f64_e32 v[64:65], s[12:13], v[34:35]
	v_fmac_f64_e32 v[44:45], s[14:15], v[40:41]
	v_add_f64 v[2:3], v[10:11], v[2:3]
	v_fmac_f64_e32 v[64:65], s[2:3], v[40:41]
	v_fmac_f64_e32 v[44:45], s[10:11], v[2:3]
	;; [unrolled: 1-line block ×3, first 2 shown]
	v_add_f64 v[2:3], v[62:63], v[22:23]
	v_add_f64 v[2:3], v[2:3], v[12:13]
	;; [unrolled: 1-line block ×5, first 2 shown]
	v_fma_f64 v[40:41], -0.5, v[2:3], v[62:63]
	v_add_f64 v[2:3], v[26:27], -v[42:43]
	v_fma_f64 v[42:43], s[12:13], v[2:3], v[40:41]
	v_add_f64 v[10:11], v[46:47], -v[36:37]
	v_add_f64 v[16:17], v[22:23], -v[12:13]
	v_add_f64 v[20:21], v[4:5], -v[18:19]
	v_fmac_f64_e32 v[40:41], s[6:7], v[2:3]
	v_fmac_f64_e32 v[42:43], s[14:15], v[10:11]
	v_add_f64 v[16:17], v[16:17], v[20:21]
	v_fmac_f64_e32 v[40:41], s[2:3], v[10:11]
	v_fmac_f64_e32 v[42:43], s[10:11], v[16:17]
	;; [unrolled: 1-line block ×3, first 2 shown]
	v_add_f64 v[16:17], v[22:23], v[4:5]
	v_fmac_f64_e32 v[62:63], -0.5, v[16:17]
	v_fma_f64 v[36:37], s[6:7], v[10:11], v[62:63]
	v_fmac_f64_e32 v[62:63], s[12:13], v[10:11]
	v_fmac_f64_e32 v[36:37], s[14:15], v[2:3]
	;; [unrolled: 1-line block ×3, first 2 shown]
	v_add_f64 v[2:3], v[60:61], v[8:9]
	v_add_f64 v[2:3], v[2:3], v[14:15]
	;; [unrolled: 1-line block ×3, first 2 shown]
	v_add_f64 v[12:13], v[12:13], -v[22:23]
	v_add_f64 v[4:5], v[18:19], -v[4:5]
	v_add_f64 v[46:47], v[2:3], v[6:7]
	v_add_f64 v[2:3], v[14:15], v[0:1]
	;; [unrolled: 1-line block ×3, first 2 shown]
	v_fma_f64 v[84:85], -0.5, v[2:3], v[60:61]
	v_add_f64 v[2:3], v[28:29], -v[24:25]
	v_fmac_f64_e32 v[36:37], s[10:11], v[4:5]
	v_fmac_f64_e32 v[62:63], s[10:11], v[4:5]
	v_fma_f64 v[86:87], s[12:13], v[2:3], v[84:85]
	v_add_f64 v[4:5], v[32:33], -v[38:39]
	v_add_f64 v[10:11], v[8:9], -v[14:15]
	;; [unrolled: 1-line block ×3, first 2 shown]
	v_fmac_f64_e32 v[84:85], s[6:7], v[2:3]
	v_fmac_f64_e32 v[86:87], s[14:15], v[4:5]
	v_add_f64 v[10:11], v[10:11], v[12:13]
	v_fmac_f64_e32 v[84:85], s[2:3], v[4:5]
	v_fmac_f64_e32 v[86:87], s[10:11], v[10:11]
	;; [unrolled: 1-line block ×3, first 2 shown]
	v_add_f64 v[10:11], v[8:9], v[6:7]
	v_fmac_f64_e32 v[60:61], -0.5, v[10:11]
	v_fma_f64 v[38:39], s[6:7], v[4:5], v[60:61]
	v_fmac_f64_e32 v[60:61], s[12:13], v[4:5]
	v_add_u32_e32 v4, 0x1400, v124
	v_add_f64 v[8:9], v[14:15], -v[8:9]
	v_add_f64 v[0:1], v[0:1], -v[6:7]
	s_waitcnt lgkmcnt(0)
	s_barrier
	ds_read_b64 v[24:25], v124
	ds_read_b64 v[26:27], v127
	;; [unrolled: 1-line block ×3, first 2 shown]
	ds_read_b64 v[28:29], v108 offset:3000
	ds_read2_b64 v[12:15], v4 offset0:110 offset1:235
	v_add_u32_e32 v4, 0x1c00, v124
	v_fmac_f64_e32 v[38:39], s[14:15], v[2:3]
	v_add_f64 v[0:1], v[8:9], v[0:1]
	v_fmac_f64_e32 v[60:61], s[2:3], v[2:3]
	ds_read2_b64 v[8:11], v4 offset0:104 offset1:229
	v_add_u32_e32 v4, 0x2400, v124
	v_fmac_f64_e32 v[38:39], s[10:11], v[0:1]
	v_fmac_f64_e32 v[60:61], s[10:11], v[0:1]
	v_add_u32_e32 v0, 0xc00, v124
	ds_read2_b64 v[20:23], v4 offset0:98 offset1:223
	v_add_u32_e32 v4, 0x2c00, v124
	v_add_u32_e32 v16, 0x3400, v124
	ds_read2_b64 v[0:3], v0 offset0:116 offset1:241
	ds_read2_b64 v[4:7], v4 offset0:92 offset1:217
	ds_read2_b64 v[16:19], v16 offset0:86 offset1:211
	s_waitcnt lgkmcnt(0)
	s_barrier
	ds_write2_b64 v66, v[50:51], v[72:73] offset1:25
	ds_write2_b64 v66, v[44:45], v[64:65] offset0:50 offset1:75
	ds_write_b64 v66, v[74:75] offset:800
	ds_write2_b64 v58, v[34:35], v[42:43] offset1:25
	ds_write2_b64 v58, v[36:37], v[62:63] offset0:50 offset1:75
	ds_write_b64 v58, v[40:41] offset:800
	ds_write2_b64 v56, v[46:47], v[86:87] offset1:25
	ds_write2_b64 v56, v[38:39], v[60:61] offset0:50 offset1:75
	ds_write_b64 v56, v[84:85] offset:800
	s_and_saveexec_b64 s[2:3], s[0:1]
	s_cbranch_execz .LBB0_35
; %bb.34:
	v_add_f64 v[36:37], v[68:69], v[70:71]
	s_mov_b32 s0, 0x134454ff
	v_fma_f64 v[36:37], -0.5, v[36:37], v[52:53]
	v_add_f64 v[38:39], v[80:81], -v[82:83]
	s_mov_b32 s1, 0xbfee6f0e
	s_mov_b32 s6, 0x4755a5e
	;; [unrolled: 1-line block ×4, first 2 shown]
	v_fma_f64 v[40:41], s[0:1], v[38:39], v[36:37]
	v_add_f64 v[42:43], v[76:77], -v[78:79]
	s_mov_b32 s7, 0xbfe2cf23
	v_add_f64 v[44:45], v[30:31], -v[68:69]
	v_add_f64 v[46:47], v[48:49], -v[70:71]
	v_fmac_f64_e32 v[36:37], s[12:13], v[38:39]
	s_mov_b32 s15, 0x3fe2cf23
	s_mov_b32 s14, s6
	v_fmac_f64_e32 v[40:41], s[6:7], v[42:43]
	v_add_f64 v[44:45], v[44:45], v[46:47]
	v_fmac_f64_e32 v[36:37], s[14:15], v[42:43]
	v_fmac_f64_e32 v[40:41], s[10:11], v[44:45]
	;; [unrolled: 1-line block ×3, first 2 shown]
	v_add_f64 v[44:45], v[30:31], v[48:49]
	v_add_f64 v[34:35], v[52:53], v[30:31]
	v_fmac_f64_e32 v[52:53], -0.5, v[44:45]
	v_add_f64 v[34:35], v[34:35], v[68:69]
	v_fma_f64 v[44:45], s[12:13], v[42:43], v[52:53]
	v_add_f64 v[30:31], v[68:69], -v[30:31]
	v_add_f64 v[46:47], v[70:71], -v[48:49]
	v_fmac_f64_e32 v[52:53], s[0:1], v[42:43]
	v_add_f64 v[34:35], v[34:35], v[70:71]
	v_fmac_f64_e32 v[44:45], s[6:7], v[38:39]
	v_add_f64 v[30:31], v[30:31], v[46:47]
	;; [unrolled: 2-line block ×3, first 2 shown]
	v_fmac_f64_e32 v[44:45], s[10:11], v[30:31]
	v_fmac_f64_e32 v[52:53], s[10:11], v[30:31]
	v_add_u32_e32 v30, 0x3800, v54
	ds_write2_b64 v30, v[34:35], v[40:41] offset0:83 offset1:108
	ds_write2_b64 v30, v[44:45], v[52:53] offset0:133 offset1:158
	ds_write_b64 v54, v[36:37] offset:15800
.LBB0_35:
	s_or_b64 exec, exec, s[2:3]
	s_waitcnt lgkmcnt(0)
	s_barrier
	s_and_saveexec_b64 s[0:1], vcc
	s_cbranch_execz .LBB0_37
; %bb.36:
	v_mul_u32_u24_e32 v30, 15, v123
	v_lshlrev_b32_e32 v30, 4, v30
	global_load_dwordx4 v[34:37], v30, s[4:5] offset:1936
	global_load_dwordx4 v[38:41], v30, s[4:5] offset:2064
	global_load_dwordx4 v[42:45], v30, s[4:5] offset:2000
	global_load_dwordx4 v[46:49], v30, s[4:5] offset:2128
	global_load_dwordx4 v[50:53], v30, s[4:5] offset:2032
	global_load_dwordx4 v[54:57], v30, s[4:5] offset:1968
	global_load_dwordx4 v[58:61], v30, s[4:5] offset:2096
	global_load_dwordx4 v[62:65], v30, s[4:5] offset:1920
	global_load_dwordx4 v[66:69], v30, s[4:5] offset:2048
	global_load_dwordx4 v[70:73], v30, s[4:5] offset:1984
	global_load_dwordx4 v[74:77], v30, s[4:5] offset:2112
	global_load_dwordx4 v[78:81], v30, s[4:5] offset:1952
	global_load_dwordx4 v[82:85], v30, s[4:5] offset:2080
	global_load_dwordx4 v[86:89], v30, s[4:5] offset:2016
	global_load_dwordx4 v[90:93], v30, s[4:5] offset:2144
	v_add_u32_e32 v94, 0x2400, v124
	v_add_u32_e32 v98, 0x1400, v124
	;; [unrolled: 1-line block ×6, first 2 shown]
	ds_read_b64 v[30:31], v124
	ds_read_b64 v[102:103], v128
	;; [unrolled: 1-line block ×3, first 2 shown]
	ds_read_b64 v[126:127], v108 offset:3000
	ds_read2_b64 v[94:97], v94 offset0:98 offset1:223
	ds_read2_b64 v[98:101], v98 offset0:110 offset1:235
	;; [unrolled: 1-line block ×6, first 2 shown]
	s_mov_b32 s0, 0x667f3bcd
	s_mov_b32 s1, 0x3fe6a09e
	;; [unrolled: 1-line block ×12, first 2 shown]
	s_waitcnt vmcnt(14) lgkmcnt(8)
	v_mul_f64 v[128:129], v[102:103], v[36:37]
	s_waitcnt vmcnt(13) lgkmcnt(5)
	v_mul_f64 v[130:131], v[94:95], v[40:41]
	v_mul_f64 v[36:37], v[32:33], v[36:37]
	;; [unrolled: 1-line block ×3, first 2 shown]
	s_waitcnt vmcnt(12)
	v_mul_f64 v[132:133], v[12:13], v[44:45]
	s_waitcnt vmcnt(10)
	v_mul_f64 v[136:137], v[8:9], v[52:53]
	s_waitcnt vmcnt(9) lgkmcnt(1)
	v_mul_f64 v[138:139], v[114:115], v[56:57]
	s_waitcnt vmcnt(7)
	v_mul_f64 v[142:143], v[124:125], v[64:65]
	s_waitcnt vmcnt(6)
	v_mul_f64 v[144:145], v[112:113], v[68:69]
	v_fma_f64 v[32:33], v[32:33], v[34:35], -v[128:129]
	v_fma_f64 v[20:21], v[20:21], v[38:39], -v[130:131]
	v_fmac_f64_e32 v[36:37], v[34:35], v[102:103]
	v_fmac_f64_e32 v[40:41], v[38:39], v[94:95]
	v_fma_f64 v[34:35], v[26:27], v[62:63], -v[142:143]
	v_fma_f64 v[38:39], v[10:11], v[66:67], -v[144:145]
	v_mul_f64 v[26:27], v[26:27], v[64:65]
	v_mul_f64 v[10:11], v[10:11], v[68:69]
	;; [unrolled: 1-line block ×4, first 2 shown]
	v_fmac_f64_e32 v[132:133], v[98:99], v[42:43]
	v_fma_f64 v[98:99], v[0:1], v[54:55], -v[138:139]
	v_fmac_f64_e32 v[26:27], v[62:63], v[124:125]
	v_fmac_f64_e32 v[10:11], v[66:67], v[112:113]
	v_fma_f64 v[8:9], v[8:9], v[50:51], -v[52:53]
	v_mul_f64 v[52:53], v[0:1], v[56:57]
	v_mul_f64 v[0:1], v[4:5], v[60:61]
	;; [unrolled: 1-line block ×3, first 2 shown]
	s_waitcnt lgkmcnt(0)
	v_mul_f64 v[140:141], v[118:119], v[60:61]
	v_mul_f64 v[48:49], v[106:107], v[48:49]
	v_fmac_f64_e32 v[136:137], v[110:111], v[50:51]
	v_add_f64 v[62:63], v[26:27], -v[10:11]
	s_waitcnt vmcnt(5)
	v_mul_f64 v[10:11], v[116:117], v[72:73]
	v_fmac_f64_e32 v[52:53], v[54:55], v[114:115]
	v_fmac_f64_e32 v[0:1], v[58:59], v[118:119]
	v_mul_f64 v[146:147], v[2:3], v[72:73]
	s_waitcnt vmcnt(3)
	v_mul_f64 v[150:151], v[126:127], v[80:81]
	s_waitcnt vmcnt(2)
	v_mul_f64 v[152:153], v[96:97], v[84:85]
	v_fmac_f64_e32 v[134:135], v[106:107], v[46:47]
	v_fma_f64 v[106:107], v[4:5], v[58:59], -v[140:141]
	v_fma_f64 v[12:13], v[12:13], v[42:43], -v[44:45]
	;; [unrolled: 1-line block ×3, first 2 shown]
	v_add_f64 v[48:49], v[30:31], -v[136:137]
	v_fma_f64 v[64:65], v[2:3], v[70:71], -v[10:11]
	v_mul_f64 v[2:3], v[120:121], v[76:77]
	v_add_f64 v[50:51], v[24:25], -v[8:9]
	v_add_f64 v[4:5], v[52:53], -v[0:1]
	s_waitcnt vmcnt(1)
	v_mul_f64 v[154:155], v[14:15], v[88:89]
	s_waitcnt vmcnt(0)
	v_mul_f64 v[128:129], v[18:19], v[92:93]
	v_fma_f64 v[42:43], v[28:29], v[78:79], -v[150:151]
	v_fma_f64 v[44:45], v[22:23], v[82:83], -v[152:153]
	v_add_f64 v[20:21], v[32:33], -v[20:21]
	v_add_f64 v[16:17], v[12:13], -v[16:17]
	v_mul_f64 v[28:29], v[28:29], v[80:81]
	v_mul_f64 v[22:23], v[22:23], v[84:85]
	v_fma_f64 v[2:3], v[6:7], v[74:75], -v[2:3]
	v_add_f64 v[54:55], v[50:51], -v[4:5]
	v_fma_f64 v[30:31], v[30:31], 2.0, -v[48:49]
	v_fma_f64 v[4:5], v[52:53], 2.0, -v[4:5]
	v_mul_f64 v[148:149], v[6:7], v[76:77]
	v_fmac_f64_e32 v[154:155], v[100:101], v[86:87]
	v_fmac_f64_e32 v[128:129], v[108:109], v[90:91]
	v_add_f64 v[38:39], v[34:35], -v[38:39]
	v_fmac_f64_e32 v[28:29], v[78:79], v[126:127]
	v_fmac_f64_e32 v[22:23], v[82:83], v[96:97]
	v_mul_f64 v[78:79], v[100:101], v[88:89]
	v_add_f64 v[6:7], v[64:65], -v[2:3]
	v_add_f64 v[52:53], v[30:31], -v[4:5]
	v_fma_f64 v[32:33], v[32:33], 2.0, -v[20:21]
	v_fma_f64 v[4:5], v[12:13], 2.0, -v[16:17]
	v_fmac_f64_e32 v[146:147], v[116:117], v[70:71]
	v_fmac_f64_e32 v[148:149], v[120:121], v[74:75]
	v_add_f64 v[128:129], v[154:155], -v[128:129]
	v_add_f64 v[22:23], v[28:29], -v[22:23]
	v_fma_f64 v[14:15], v[14:15], v[86:87], -v[78:79]
	v_mul_f64 v[78:79], v[108:109], v[92:93]
	v_add_f64 v[58:59], v[32:33], -v[4:5]
	v_fma_f64 v[34:35], v[34:35], 2.0, -v[38:39]
	v_fma_f64 v[4:5], v[64:65], 2.0, -v[6:7]
	v_add_f64 v[102:103], v[146:147], -v[148:149]
	v_fma_f64 v[18:19], v[18:19], v[90:91], -v[78:79]
	v_add_f64 v[64:65], v[34:35], -v[4:5]
	v_fma_f64 v[28:29], v[28:29], 2.0, -v[22:23]
	v_fma_f64 v[4:5], v[154:155], 2.0, -v[128:129]
	v_add_f64 v[94:95], v[98:99], -v[106:107]
	v_add_f64 v[40:41], v[36:37], -v[40:41]
	;; [unrolled: 1-line block ×5, first 2 shown]
	v_fma_f64 v[74:75], v[26:27], 2.0, -v[62:63]
	v_fma_f64 v[4:5], v[146:147], 2.0, -v[102:103]
	v_add_f64 v[46:47], v[132:133], -v[134:135]
	v_add_f64 v[130:131], v[48:49], v[94:95]
	v_add_f64 v[134:135], v[40:41], v[16:17]
	;; [unrolled: 1-line block ×4, first 2 shown]
	v_add_f64 v[76:77], v[74:75], -v[4:5]
	v_fma_f64 v[26:27], v[42:43], 2.0, -v[44:45]
	v_fma_f64 v[4:5], v[14:15], 2.0, -v[18:19]
	v_add_f64 v[106:107], v[20:21], -v[46:47]
	v_add_f64 v[136:137], v[38:39], -v[102:103]
	v_fma_f64 v[138:139], s[0:1], v[134:135], v[130:131]
	v_add_f64 v[140:141], v[44:45], -v[128:129]
	v_fma_f64 v[68:69], s[0:1], v[78:79], v[66:67]
	v_add_f64 v[42:43], v[26:27], -v[4:5]
	v_fma_f64 v[24:25], v[24:25], 2.0, -v[50:51]
	v_fma_f64 v[4:5], v[98:99], 2.0, -v[94:95]
	v_fmac_f64_e32 v[138:139], s[0:1], v[106:107]
	v_fma_f64 v[142:143], s[0:1], v[140:141], v[136:137]
	v_fmac_f64_e32 v[68:69], s[0:1], v[140:141]
	v_add_f64 v[82:83], v[24:25], -v[4:5]
	v_fma_f64 v[36:37], v[36:37], 2.0, -v[40:41]
	v_fma_f64 v[4:5], v[132:133], 2.0, -v[46:47]
	v_fmac_f64_e32 v[142:143], s[2:3], v[78:79]
	v_fma_f64 v[56:57], s[0:1], v[106:107], v[54:55]
	v_add_f64 v[46:47], v[36:37], -v[4:5]
	v_fma_f64 v[12:13], v[20:21], 2.0, -v[106:107]
	v_fma_f64 v[20:21], v[40:41], 2.0, -v[134:135]
	;; [unrolled: 1-line block ×6, first 2 shown]
	v_fmac_f64_e32 v[56:57], s[2:3], v[134:135]
	v_fma_f64 v[96:97], v[30:31], 2.0, -v[52:53]
	v_fma_f64 v[30:31], v[36:37], 2.0, -v[46:47]
	;; [unrolled: 1-line block ×4, first 2 shown]
	v_fma_f64 v[34:35], s[6:7], v[40:41], v[32:33]
	v_add_f64 v[80:81], v[76:77], v[42:43]
	v_fma_f64 v[26:27], v[26:27], 2.0, -v[42:43]
	v_fmac_f64_e32 v[34:35], s[10:11], v[36:37]
	v_fma_f64 v[42:43], v[54:55], 2.0, -v[56:57]
	v_add_f64 v[60:61], v[58:59], v[52:53]
	v_fma_f64 v[88:89], v[38:39], 2.0, -v[136:137]
	v_fma_f64 v[38:39], v[32:33], 2.0, -v[34:35]
	v_fma_f64 v[32:33], s[6:7], v[36:37], v[42:43]
	v_add_f64 v[72:73], v[64:65], -v[70:71]
	v_fma_f64 v[92:93], v[50:51], 2.0, -v[54:55]
	v_fmac_f64_e32 v[32:33], s[12:13], v[40:41]
	v_fma_f64 v[40:41], v[52:53], 2.0, -v[60:61]
	v_fma_f64 v[50:51], v[76:77], 2.0, -v[80:81]
	v_add_f64 v[84:85], v[82:83], -v[46:47]
	v_fma_f64 v[48:49], v[48:49], 2.0, -v[130:131]
	v_fma_f64 v[14:15], v[44:45], 2.0, -v[140:141]
	;; [unrolled: 1-line block ×6, first 2 shown]
	v_fma_f64 v[42:43], s[2:3], v[50:51], v[40:41]
	v_fma_f64 v[0:1], s[10:11], v[142:143], v[56:57]
	;; [unrolled: 1-line block ×4, first 2 shown]
	v_fmac_f64_e32 v[42:43], s[0:1], v[44:45]
	v_fma_f64 v[52:53], v[82:83], 2.0, -v[84:85]
	v_fmac_f64_e32 v[0:1], s[6:7], v[68:69]
	v_fmac_f64_e32 v[86:87], s[0:1], v[12:13]
	v_fma_f64 v[90:91], s[2:3], v[14:15], v[88:89]
	v_fmac_f64_e32 v[78:79], s[0:1], v[14:15]
	v_fma_f64 v[46:47], v[40:41], 2.0, -v[42:43]
	v_fma_f64 v[40:41], s[2:3], v[44:45], v[52:53]
	v_fma_f64 v[8:9], v[56:57], 2.0, -v[0:1]
	v_fma_f64 v[6:7], s[0:1], v[80:81], v[60:61]
	v_fmac_f64_e32 v[90:91], s[2:3], v[22:23]
	v_fma_f64 v[94:95], s[2:3], v[12:13], v[92:93]
	v_fmac_f64_e32 v[40:41], s[2:3], v[50:51]
	v_fma_f64 v[48:49], v[48:49], 2.0, -v[86:87]
	v_fma_f64 v[56:57], v[62:63], 2.0, -v[78:79]
	v_fmac_f64_e32 v[6:7], s[0:1], v[72:73]
	v_fmac_f64_e32 v[94:95], s[2:3], v[20:21]
	v_fma_f64 v[44:45], v[52:53], 2.0, -v[40:41]
	v_fma_f64 v[52:53], v[88:89], 2.0, -v[90:91]
	v_fma_f64 v[50:51], s[12:13], v[56:57], v[48:49]
	v_fma_f64 v[18:19], v[60:61], 2.0, -v[6:7]
	v_add_f64 v[108:109], v[106:107], -v[24:25]
	v_fma_f64 v[58:59], v[74:75], 2.0, -v[76:77]
	v_fma_f64 v[24:25], v[28:29], 2.0, -v[70:71]
	v_fmac_f64_e32 v[50:51], s[4:5], v[52:53]
	v_fma_f64 v[60:61], v[92:93], 2.0, -v[94:95]
	v_add_f64 v[98:99], v[96:97], -v[30:31]
	v_add_f64 v[70:71], v[58:59], -v[24:25]
	v_fma_f64 v[54:55], v[48:49], 2.0, -v[50:51]
	v_fma_f64 v[48:49], s[12:13], v[52:53], v[60:61]
	v_fma_f64 v[4:5], s[0:1], v[72:73], v[84:85]
	v_fmac_f64_e32 v[48:49], s[6:7], v[56:57]
	v_fma_f64 v[56:57], v[96:97], 2.0, -v[98:99]
	v_fma_f64 v[58:59], v[58:59], 2.0, -v[70:71]
	v_mad_u64_u32 v[64:65], s[0:1], s8, v122, 0
	v_add_f64 v[102:103], v[100:101], -v[26:27]
	v_add_f64 v[58:59], v[56:57], -v[58:59]
	v_mov_b32_e32 v66, v65
	v_fma_f64 v[52:53], v[60:61], 2.0, -v[48:49]
	v_fma_f64 v[62:63], v[56:57], 2.0, -v[58:59]
	;; [unrolled: 1-line block ×4, first 2 shown]
	v_mad_u64_u32 v[66:67], s[0:1], s9, v122, v[66:67]
	v_add_f64 v[56:57], v[60:61], -v[56:57]
	v_mov_b32_e32 v65, v66
	v_fma_f64 v[60:61], v[60:61], 2.0, -v[56:57]
	v_lshl_add_u64 v[64:65], v[64:65], 4, v[104:105]
	global_store_dwordx4 v[64:65], v[60:63], off
	v_add_f64 v[26:27], v[98:99], v[102:103]
	v_add_f64 v[24:25], v[108:109], -v[70:71]
	v_add_u32_e32 v63, 0x7d, v122
	v_mad_u64_u32 v[60:61], s[0:1], s8, v63, 0
	v_mov_b32_e32 v62, v61
	v_mad_u64_u32 v[62:63], s[0:1], s9, v63, v[62:63]
	v_mov_b32_e32 v61, v62
	v_lshl_add_u64 v[60:61], v[60:61], 4, v[104:105]
	global_store_dwordx4 v[60:61], v[52:55], off
	v_fma_f64 v[30:31], v[98:99], 2.0, -v[26:27]
	v_fma_f64 v[28:29], v[108:109], 2.0, -v[24:25]
	v_add_u32_e32 v55, 0xfa, v122
	v_mad_u64_u32 v[52:53], s[0:1], s8, v55, 0
	v_mov_b32_e32 v54, v53
	v_mad_u64_u32 v[54:55], s[0:1], s9, v55, v[54:55]
	v_mov_b32_e32 v53, v54
	v_lshl_add_u64 v[52:53], v[52:53], 4, v[104:105]
	global_store_dwordx4 v[52:53], v[44:47], off
	v_fma_f64 v[14:15], s[4:5], v[78:79], v[86:87]
	v_fma_f64 v[12:13], s[4:5], v[90:91], v[94:95]
	v_add_u32_e32 v47, 0x177, v122
	v_mad_u64_u32 v[44:45], s[0:1], s8, v47, 0
	v_mov_b32_e32 v46, v45
	v_mad_u64_u32 v[46:47], s[0:1], s9, v47, v[46:47]
	v_mov_b32_e32 v45, v46
	v_lshl_add_u64 v[44:45], v[44:45], 4, v[104:105]
	global_store_dwordx4 v[44:45], v[36:39], off
	v_fmac_f64_e32 v[14:15], s[10:11], v[90:91]
	v_fmac_f64_e32 v[12:13], s[12:13], v[78:79]
	v_add_u32_e32 v39, 0x1f4, v122
	v_mad_u64_u32 v[36:37], s[0:1], s8, v39, 0
	v_mov_b32_e32 v38, v37
	v_mad_u64_u32 v[38:39], s[0:1], s9, v39, v[38:39]
	v_mov_b32_e32 v37, v38
	v_lshl_add_u64 v[36:37], v[36:37], 4, v[104:105]
	global_store_dwordx4 v[36:37], v[28:31], off
	v_fma_f64 v[22:23], v[86:87], 2.0, -v[14:15]
	v_fma_f64 v[20:21], v[94:95], 2.0, -v[12:13]
	v_add_u32_e32 v31, 0x271, v122
	v_mad_u64_u32 v[28:29], s[0:1], s8, v31, 0
	v_mov_b32_e32 v30, v29
	v_mad_u64_u32 v[30:31], s[0:1], s9, v31, v[30:31]
	v_mov_b32_e32 v29, v30
	v_lshl_add_u64 v[28:29], v[28:29], 4, v[104:105]
	global_store_dwordx4 v[28:29], v[20:23], off
	v_fmac_f64_e32 v[4:5], s[2:3], v[80:81]
	v_fma_f64 v[16:17], v[84:85], 2.0, -v[4:5]
	v_add_u32_e32 v23, 0x2ee, v122
	v_mad_u64_u32 v[20:21], s[0:1], s8, v23, 0
	v_mov_b32_e32 v22, v21
	v_mad_u64_u32 v[22:23], s[0:1], s9, v23, v[22:23]
	v_mov_b32_e32 v21, v22
	v_lshl_add_u64 v[20:21], v[20:21], 4, v[104:105]
	global_store_dwordx4 v[20:21], v[16:19], off
	v_fma_f64 v[2:3], s[10:11], v[68:69], v[138:139]
	v_fmac_f64_e32 v[2:3], s[4:5], v[142:143]
	v_add_u32_e32 v19, 0x36b, v122
	v_mad_u64_u32 v[16:17], s[0:1], s8, v19, 0
	v_mov_b32_e32 v18, v17
	v_mad_u64_u32 v[18:19], s[0:1], s9, v19, v[18:19]
	v_mov_b32_e32 v17, v18
	v_fma_f64 v[10:11], v[138:139], 2.0, -v[2:3]
	v_lshl_add_u64 v[16:17], v[16:17], 4, v[104:105]
	global_store_dwordx4 v[16:17], v[8:11], off
	s_nop 1
	v_add_u32_e32 v11, 0x3e8, v122
	v_mad_u64_u32 v[8:9], s[0:1], s8, v11, 0
	v_mov_b32_e32 v10, v9
	v_mad_u64_u32 v[10:11], s[0:1], s9, v11, v[10:11]
	v_mov_b32_e32 v9, v10
	v_lshl_add_u64 v[8:9], v[8:9], 4, v[104:105]
	v_add_u32_e32 v11, 0x465, v122
	global_store_dwordx4 v[8:9], v[56:59], off
	v_mad_u64_u32 v[8:9], s[0:1], s8, v11, 0
	v_mov_b32_e32 v10, v9
	v_mad_u64_u32 v[10:11], s[0:1], s9, v11, v[10:11]
	v_mov_b32_e32 v9, v10
	v_lshl_add_u64 v[8:9], v[8:9], 4, v[104:105]
	v_add_u32_e32 v11, 0x4e2, v122
	global_store_dwordx4 v[8:9], v[48:51], off
	;; [unrolled: 7-line block ×6, first 2 shown]
	v_mad_u64_u32 v[8:9], s[0:1], s8, v11, 0
	v_mov_b32_e32 v10, v9
	v_mad_u64_u32 v[10:11], s[0:1], s9, v11, v[10:11]
	v_mov_b32_e32 v9, v10
	v_lshl_add_u64 v[8:9], v[8:9], 4, v[104:105]
	global_store_dwordx4 v[8:9], v[4:7], off
	s_nop 1
	v_add_u32_e32 v7, 0x753, v122
	v_mad_u64_u32 v[4:5], s[0:1], s8, v7, 0
	v_mov_b32_e32 v6, v5
	v_mad_u64_u32 v[6:7], s[0:1], s9, v7, v[6:7]
	v_mov_b32_e32 v5, v6
	v_lshl_add_u64 v[4:5], v[4:5], 4, v[104:105]
	global_store_dwordx4 v[4:5], v[0:3], off
.LBB0_37:
	s_endpgm
	.section	.rodata,"a",@progbits
	.p2align	6, 0x0
	.amdhsa_kernel fft_rtc_fwd_len2000_factors_5_5_5_16_wgs_125_tpt_125_halfLds_dp_ip_CI_sbrr_dirReg
		.amdhsa_group_segment_fixed_size 0
		.amdhsa_private_segment_fixed_size 0
		.amdhsa_kernarg_size 88
		.amdhsa_user_sgpr_count 2
		.amdhsa_user_sgpr_dispatch_ptr 0
		.amdhsa_user_sgpr_queue_ptr 0
		.amdhsa_user_sgpr_kernarg_segment_ptr 1
		.amdhsa_user_sgpr_dispatch_id 0
		.amdhsa_user_sgpr_kernarg_preload_length 0
		.amdhsa_user_sgpr_kernarg_preload_offset 0
		.amdhsa_user_sgpr_private_segment_size 0
		.amdhsa_uses_dynamic_stack 0
		.amdhsa_enable_private_segment 0
		.amdhsa_system_sgpr_workgroup_id_x 1
		.amdhsa_system_sgpr_workgroup_id_y 0
		.amdhsa_system_sgpr_workgroup_id_z 0
		.amdhsa_system_sgpr_workgroup_info 0
		.amdhsa_system_vgpr_workitem_id 0
		.amdhsa_next_free_vgpr 156
		.amdhsa_next_free_sgpr 24
		.amdhsa_accum_offset 156
		.amdhsa_reserve_vcc 1
		.amdhsa_float_round_mode_32 0
		.amdhsa_float_round_mode_16_64 0
		.amdhsa_float_denorm_mode_32 3
		.amdhsa_float_denorm_mode_16_64 3
		.amdhsa_dx10_clamp 1
		.amdhsa_ieee_mode 1
		.amdhsa_fp16_overflow 0
		.amdhsa_tg_split 0
		.amdhsa_exception_fp_ieee_invalid_op 0
		.amdhsa_exception_fp_denorm_src 0
		.amdhsa_exception_fp_ieee_div_zero 0
		.amdhsa_exception_fp_ieee_overflow 0
		.amdhsa_exception_fp_ieee_underflow 0
		.amdhsa_exception_fp_ieee_inexact 0
		.amdhsa_exception_int_div_zero 0
	.end_amdhsa_kernel
	.text
.Lfunc_end0:
	.size	fft_rtc_fwd_len2000_factors_5_5_5_16_wgs_125_tpt_125_halfLds_dp_ip_CI_sbrr_dirReg, .Lfunc_end0-fft_rtc_fwd_len2000_factors_5_5_5_16_wgs_125_tpt_125_halfLds_dp_ip_CI_sbrr_dirReg
                                        ; -- End function
	.section	.AMDGPU.csdata,"",@progbits
; Kernel info:
; codeLenInByte = 13024
; NumSgprs: 30
; NumVgprs: 156
; NumAgprs: 0
; TotalNumVgprs: 156
; ScratchSize: 0
; MemoryBound: 1
; FloatMode: 240
; IeeeMode: 1
; LDSByteSize: 0 bytes/workgroup (compile time only)
; SGPRBlocks: 3
; VGPRBlocks: 19
; NumSGPRsForWavesPerEU: 30
; NumVGPRsForWavesPerEU: 156
; AccumOffset: 156
; Occupancy: 3
; WaveLimiterHint : 1
; COMPUTE_PGM_RSRC2:SCRATCH_EN: 0
; COMPUTE_PGM_RSRC2:USER_SGPR: 2
; COMPUTE_PGM_RSRC2:TRAP_HANDLER: 0
; COMPUTE_PGM_RSRC2:TGID_X_EN: 1
; COMPUTE_PGM_RSRC2:TGID_Y_EN: 0
; COMPUTE_PGM_RSRC2:TGID_Z_EN: 0
; COMPUTE_PGM_RSRC2:TIDIG_COMP_CNT: 0
; COMPUTE_PGM_RSRC3_GFX90A:ACCUM_OFFSET: 38
; COMPUTE_PGM_RSRC3_GFX90A:TG_SPLIT: 0
	.text
	.p2alignl 6, 3212836864
	.fill 256, 4, 3212836864
	.type	__hip_cuid_d0601ef1d40510ae,@object ; @__hip_cuid_d0601ef1d40510ae
	.section	.bss,"aw",@nobits
	.globl	__hip_cuid_d0601ef1d40510ae
__hip_cuid_d0601ef1d40510ae:
	.byte	0                               ; 0x0
	.size	__hip_cuid_d0601ef1d40510ae, 1

	.ident	"AMD clang version 19.0.0git (https://github.com/RadeonOpenCompute/llvm-project roc-6.4.0 25133 c7fe45cf4b819c5991fe208aaa96edf142730f1d)"
	.section	".note.GNU-stack","",@progbits
	.addrsig
	.addrsig_sym __hip_cuid_d0601ef1d40510ae
	.amdgpu_metadata
---
amdhsa.kernels:
  - .agpr_count:     0
    .args:
      - .actual_access:  read_only
        .address_space:  global
        .offset:         0
        .size:           8
        .value_kind:     global_buffer
      - .offset:         8
        .size:           8
        .value_kind:     by_value
      - .actual_access:  read_only
        .address_space:  global
        .offset:         16
        .size:           8
        .value_kind:     global_buffer
      - .actual_access:  read_only
        .address_space:  global
        .offset:         24
        .size:           8
        .value_kind:     global_buffer
      - .offset:         32
        .size:           8
        .value_kind:     by_value
      - .actual_access:  read_only
        .address_space:  global
        .offset:         40
        .size:           8
        .value_kind:     global_buffer
      - .actual_access:  read_only
        .address_space:  global
        .offset:         48
        .size:           8
        .value_kind:     global_buffer
      - .offset:         56
        .size:           4
        .value_kind:     by_value
      - .actual_access:  read_only
        .address_space:  global
        .offset:         64
        .size:           8
        .value_kind:     global_buffer
      - .actual_access:  read_only
        .address_space:  global
        .offset:         72
        .size:           8
        .value_kind:     global_buffer
      - .address_space:  global
        .offset:         80
        .size:           8
        .value_kind:     global_buffer
    .group_segment_fixed_size: 0
    .kernarg_segment_align: 8
    .kernarg_segment_size: 88
    .language:       OpenCL C
    .language_version:
      - 2
      - 0
    .max_flat_workgroup_size: 125
    .name:           fft_rtc_fwd_len2000_factors_5_5_5_16_wgs_125_tpt_125_halfLds_dp_ip_CI_sbrr_dirReg
    .private_segment_fixed_size: 0
    .sgpr_count:     30
    .sgpr_spill_count: 0
    .symbol:         fft_rtc_fwd_len2000_factors_5_5_5_16_wgs_125_tpt_125_halfLds_dp_ip_CI_sbrr_dirReg.kd
    .uniform_work_group_size: 1
    .uses_dynamic_stack: false
    .vgpr_count:     156
    .vgpr_spill_count: 0
    .wavefront_size: 64
amdhsa.target:   amdgcn-amd-amdhsa--gfx950
amdhsa.version:
  - 1
  - 2
...

	.end_amdgpu_metadata
